;; amdgpu-corpus repo=ROCm/rocFFT kind=compiled arch=gfx906 opt=O3
	.text
	.amdgcn_target "amdgcn-amd-amdhsa--gfx906"
	.amdhsa_code_object_version 6
	.protected	fft_rtc_fwd_len195_factors_13_5_3_wgs_52_tpt_13_dp_ip_CI_sbrr_dirReg ; -- Begin function fft_rtc_fwd_len195_factors_13_5_3_wgs_52_tpt_13_dp_ip_CI_sbrr_dirReg
	.globl	fft_rtc_fwd_len195_factors_13_5_3_wgs_52_tpt_13_dp_ip_CI_sbrr_dirReg
	.p2align	8
	.type	fft_rtc_fwd_len195_factors_13_5_3_wgs_52_tpt_13_dp_ip_CI_sbrr_dirReg,@function
fft_rtc_fwd_len195_factors_13_5_3_wgs_52_tpt_13_dp_ip_CI_sbrr_dirReg: ; @fft_rtc_fwd_len195_factors_13_5_3_wgs_52_tpt_13_dp_ip_CI_sbrr_dirReg
; %bb.0:
	s_load_dwordx2 s[14:15], s[4:5], 0x18
	s_load_dwordx4 s[8:11], s[4:5], 0x0
	s_load_dwordx2 s[12:13], s[4:5], 0x50
	v_mul_u32_u24_e32 v1, 0x13b2, v0
	v_lshrrev_b32_e32 v9, 16, v1
	s_waitcnt lgkmcnt(0)
	s_load_dwordx2 s[2:3], s[14:15], 0x0
	v_cmp_lt_u64_e64 s[0:1], s[10:11], 2
	v_mov_b32_e32 v3, 0
	v_mov_b32_e32 v1, 0
	v_lshl_add_u32 v5, s6, 2, v9
	v_mov_b32_e32 v6, v3
	s_and_b64 vcc, exec, s[0:1]
	v_mov_b32_e32 v2, 0
	s_cbranch_vccnz .LBB0_8
; %bb.1:
	s_load_dwordx2 s[0:1], s[4:5], 0x10
	s_add_u32 s6, s14, 8
	s_addc_u32 s7, s15, 0
	v_mov_b32_e32 v1, 0
	v_mov_b32_e32 v2, 0
	s_waitcnt lgkmcnt(0)
	s_add_u32 s16, s0, 8
	s_addc_u32 s17, s1, 0
	s_mov_b64 s[18:19], 1
.LBB0_2:                                ; =>This Inner Loop Header: Depth=1
	s_load_dwordx2 s[20:21], s[16:17], 0x0
                                        ; implicit-def: $vgpr7_vgpr8
	s_waitcnt lgkmcnt(0)
	v_or_b32_e32 v4, s21, v6
	v_cmp_ne_u64_e32 vcc, 0, v[3:4]
	s_and_saveexec_b64 s[0:1], vcc
	s_xor_b64 s[22:23], exec, s[0:1]
	s_cbranch_execz .LBB0_4
; %bb.3:                                ;   in Loop: Header=BB0_2 Depth=1
	v_cvt_f32_u32_e32 v4, s20
	v_cvt_f32_u32_e32 v7, s21
	s_sub_u32 s0, 0, s20
	s_subb_u32 s1, 0, s21
	v_mac_f32_e32 v4, 0x4f800000, v7
	v_rcp_f32_e32 v4, v4
	v_mul_f32_e32 v4, 0x5f7ffffc, v4
	v_mul_f32_e32 v7, 0x2f800000, v4
	v_trunc_f32_e32 v7, v7
	v_mac_f32_e32 v4, 0xcf800000, v7
	v_cvt_u32_f32_e32 v7, v7
	v_cvt_u32_f32_e32 v4, v4
	v_mul_lo_u32 v8, s0, v7
	v_mul_hi_u32 v10, s0, v4
	v_mul_lo_u32 v12, s1, v4
	v_mul_lo_u32 v11, s0, v4
	v_add_u32_e32 v8, v10, v8
	v_add_u32_e32 v8, v8, v12
	v_mul_hi_u32 v10, v4, v11
	v_mul_lo_u32 v12, v4, v8
	v_mul_hi_u32 v14, v4, v8
	v_mul_hi_u32 v13, v7, v11
	v_mul_lo_u32 v11, v7, v11
	v_mul_hi_u32 v15, v7, v8
	v_add_co_u32_e32 v10, vcc, v10, v12
	v_addc_co_u32_e32 v12, vcc, 0, v14, vcc
	v_mul_lo_u32 v8, v7, v8
	v_add_co_u32_e32 v10, vcc, v10, v11
	v_addc_co_u32_e32 v10, vcc, v12, v13, vcc
	v_addc_co_u32_e32 v11, vcc, 0, v15, vcc
	v_add_co_u32_e32 v8, vcc, v10, v8
	v_addc_co_u32_e32 v10, vcc, 0, v11, vcc
	v_add_co_u32_e32 v4, vcc, v4, v8
	v_addc_co_u32_e32 v7, vcc, v7, v10, vcc
	v_mul_lo_u32 v8, s0, v7
	v_mul_hi_u32 v10, s0, v4
	v_mul_lo_u32 v11, s1, v4
	v_mul_lo_u32 v12, s0, v4
	v_add_u32_e32 v8, v10, v8
	v_add_u32_e32 v8, v8, v11
	v_mul_lo_u32 v13, v4, v8
	v_mul_hi_u32 v14, v4, v12
	v_mul_hi_u32 v15, v4, v8
	v_mul_hi_u32 v11, v7, v12
	v_mul_lo_u32 v12, v7, v12
	v_mul_hi_u32 v10, v7, v8
	v_add_co_u32_e32 v13, vcc, v14, v13
	v_addc_co_u32_e32 v14, vcc, 0, v15, vcc
	v_mul_lo_u32 v8, v7, v8
	v_add_co_u32_e32 v12, vcc, v13, v12
	v_addc_co_u32_e32 v11, vcc, v14, v11, vcc
	v_addc_co_u32_e32 v10, vcc, 0, v10, vcc
	v_add_co_u32_e32 v8, vcc, v11, v8
	v_addc_co_u32_e32 v10, vcc, 0, v10, vcc
	v_add_co_u32_e32 v4, vcc, v4, v8
	v_addc_co_u32_e32 v10, vcc, v7, v10, vcc
	v_mad_u64_u32 v[7:8], s[0:1], v5, v10, 0
	v_mul_hi_u32 v11, v5, v4
	v_add_co_u32_e32 v12, vcc, v11, v7
	v_addc_co_u32_e32 v13, vcc, 0, v8, vcc
	v_mad_u64_u32 v[7:8], s[0:1], v6, v4, 0
	v_mad_u64_u32 v[10:11], s[0:1], v6, v10, 0
	v_add_co_u32_e32 v4, vcc, v12, v7
	v_addc_co_u32_e32 v4, vcc, v13, v8, vcc
	v_addc_co_u32_e32 v7, vcc, 0, v11, vcc
	v_add_co_u32_e32 v4, vcc, v4, v10
	v_addc_co_u32_e32 v10, vcc, 0, v7, vcc
	v_mul_lo_u32 v11, s21, v4
	v_mul_lo_u32 v12, s20, v10
	v_mad_u64_u32 v[7:8], s[0:1], s20, v4, 0
	v_add3_u32 v8, v8, v12, v11
	v_sub_u32_e32 v11, v6, v8
	v_mov_b32_e32 v12, s21
	v_sub_co_u32_e32 v7, vcc, v5, v7
	v_subb_co_u32_e64 v11, s[0:1], v11, v12, vcc
	v_subrev_co_u32_e64 v12, s[0:1], s20, v7
	v_subbrev_co_u32_e64 v11, s[0:1], 0, v11, s[0:1]
	v_cmp_le_u32_e64 s[0:1], s21, v11
	v_cndmask_b32_e64 v13, 0, -1, s[0:1]
	v_cmp_le_u32_e64 s[0:1], s20, v12
	v_cndmask_b32_e64 v12, 0, -1, s[0:1]
	v_cmp_eq_u32_e64 s[0:1], s21, v11
	v_cndmask_b32_e64 v11, v13, v12, s[0:1]
	v_add_co_u32_e64 v12, s[0:1], 2, v4
	v_addc_co_u32_e64 v13, s[0:1], 0, v10, s[0:1]
	v_add_co_u32_e64 v14, s[0:1], 1, v4
	v_addc_co_u32_e64 v15, s[0:1], 0, v10, s[0:1]
	v_subb_co_u32_e32 v8, vcc, v6, v8, vcc
	v_cmp_ne_u32_e64 s[0:1], 0, v11
	v_cmp_le_u32_e32 vcc, s21, v8
	v_cndmask_b32_e64 v11, v15, v13, s[0:1]
	v_cndmask_b32_e64 v13, 0, -1, vcc
	v_cmp_le_u32_e32 vcc, s20, v7
	v_cndmask_b32_e64 v7, 0, -1, vcc
	v_cmp_eq_u32_e32 vcc, s21, v8
	v_cndmask_b32_e32 v7, v13, v7, vcc
	v_cmp_ne_u32_e32 vcc, 0, v7
	v_cndmask_b32_e64 v7, v14, v12, s[0:1]
	v_cndmask_b32_e32 v8, v10, v11, vcc
	v_cndmask_b32_e32 v7, v4, v7, vcc
.LBB0_4:                                ;   in Loop: Header=BB0_2 Depth=1
	s_andn2_saveexec_b64 s[0:1], s[22:23]
	s_cbranch_execz .LBB0_6
; %bb.5:                                ;   in Loop: Header=BB0_2 Depth=1
	v_cvt_f32_u32_e32 v4, s20
	s_sub_i32 s22, 0, s20
	v_rcp_iflag_f32_e32 v4, v4
	v_mul_f32_e32 v4, 0x4f7ffffe, v4
	v_cvt_u32_f32_e32 v4, v4
	v_mul_lo_u32 v7, s22, v4
	v_mul_hi_u32 v7, v4, v7
	v_add_u32_e32 v4, v4, v7
	v_mul_hi_u32 v4, v5, v4
	v_mul_lo_u32 v7, v4, s20
	v_add_u32_e32 v8, 1, v4
	v_sub_u32_e32 v7, v5, v7
	v_subrev_u32_e32 v10, s20, v7
	v_cmp_le_u32_e32 vcc, s20, v7
	v_cndmask_b32_e32 v7, v7, v10, vcc
	v_cndmask_b32_e32 v4, v4, v8, vcc
	v_add_u32_e32 v8, 1, v4
	v_cmp_le_u32_e32 vcc, s20, v7
	v_cndmask_b32_e32 v7, v4, v8, vcc
	v_mov_b32_e32 v8, v3
.LBB0_6:                                ;   in Loop: Header=BB0_2 Depth=1
	s_or_b64 exec, exec, s[0:1]
	v_mul_lo_u32 v4, v8, s20
	v_mul_lo_u32 v12, v7, s21
	v_mad_u64_u32 v[10:11], s[0:1], v7, s20, 0
	s_load_dwordx2 s[0:1], s[6:7], 0x0
	s_add_u32 s18, s18, 1
	v_add3_u32 v4, v11, v12, v4
	v_sub_co_u32_e32 v5, vcc, v5, v10
	v_subb_co_u32_e32 v4, vcc, v6, v4, vcc
	s_waitcnt lgkmcnt(0)
	v_mul_lo_u32 v4, s0, v4
	v_mul_lo_u32 v6, s1, v5
	v_mad_u64_u32 v[1:2], s[0:1], s0, v5, v[1:2]
	s_addc_u32 s19, s19, 0
	s_add_u32 s6, s6, 8
	v_add3_u32 v2, v6, v2, v4
	v_mov_b32_e32 v4, s10
	v_mov_b32_e32 v5, s11
	s_addc_u32 s7, s7, 0
	v_cmp_ge_u64_e32 vcc, s[18:19], v[4:5]
	s_add_u32 s16, s16, 8
	s_addc_u32 s17, s17, 0
	s_cbranch_vccnz .LBB0_9
; %bb.7:                                ;   in Loop: Header=BB0_2 Depth=1
	v_mov_b32_e32 v5, v7
	v_mov_b32_e32 v6, v8
	s_branch .LBB0_2
.LBB0_8:
	v_mov_b32_e32 v8, v6
	v_mov_b32_e32 v7, v5
.LBB0_9:
	s_lshl_b64 s[0:1], s[10:11], 3
	s_add_u32 s0, s14, s0
	s_addc_u32 s1, s15, s1
	s_load_dwordx2 s[6:7], s[0:1], 0x0
	s_load_dwordx2 s[10:11], s[4:5], 0x20
	v_and_b32_e32 v3, 3, v9
                                        ; implicit-def: $vgpr148
	s_waitcnt lgkmcnt(0)
	v_mad_u64_u32 v[1:2], s[0:1], s6, v7, v[1:2]
	s_mov_b32 s0, 0x13b13b14
	v_mul_lo_u32 v4, s6, v8
	v_mul_lo_u32 v5, s7, v7
	v_mul_hi_u32 v6, v0, s0
	v_cmp_gt_u64_e32 vcc, s[10:11], v[7:8]
	v_cmp_le_u64_e64 s[0:1], s[10:11], v[7:8]
	v_add3_u32 v2, v5, v2, v4
	v_mul_u32_u24_e32 v4, 13, v6
	v_sub_u32_e32 v140, v0, v4
	v_add_u32_e32 v143, 13, v140
	s_and_saveexec_b64 s[4:5], s[0:1]
	s_xor_b64 s[0:1], exec, s[4:5]
; %bb.10:
	v_add_u32_e32 v148, 13, v140
; %bb.11:
	s_or_saveexec_b64 s[4:5], s[0:1]
	v_mul_u32_u24_e32 v0, 0xc3, v3
	v_lshlrev_b64 v[88:89], 4, v[1:2]
	v_lshlrev_b32_e32 v147, 4, v0
	v_lshlrev_b32_e32 v0, 4, v140
	v_add_u32_e32 v144, 26, v140
	v_add_u32_e32 v142, 39, v140
	;; [unrolled: 1-line block ×3, first 2 shown]
	s_xor_b64 exec, exec, s[4:5]
	s_cbranch_execz .LBB0_13
; %bb.12:
	v_mad_u64_u32 v[1:2], s[0:1], s2, v140, 0
	v_mov_b32_e32 v5, s13
	v_add_u32_e32 v23, 0x41, v140
	v_mad_u64_u32 v[2:3], s[0:1], s3, v140, v[2:3]
	v_mad_u64_u32 v[3:4], s[0:1], s2, v143, 0
	v_add_co_u32_e64 v65, s[0:1], s12, v88
	v_addc_co_u32_e64 v66, s[0:1], v5, v89, s[0:1]
	v_mad_u64_u32 v[4:5], s[0:1], s3, v143, v[4:5]
	v_lshlrev_b64 v[1:2], 4, v[1:2]
	v_add_u32_e32 v34, 0x5b, v140
	v_add_co_u32_e64 v9, s[0:1], v65, v1
	v_addc_co_u32_e64 v10, s[0:1], v66, v2, s[0:1]
	v_lshlrev_b64 v[1:2], 4, v[3:4]
	v_mad_u64_u32 v[11:12], s[0:1], s2, v144, 0
	v_add_co_u32_e64 v13, s[0:1], v65, v1
	v_addc_co_u32_e64 v14, s[0:1], v66, v2, s[0:1]
	v_mad_u64_u32 v[15:16], s[0:1], s2, v142, 0
	v_mov_b32_e32 v1, v12
	v_mad_u64_u32 v[17:18], s[0:1], s3, v144, v[1:2]
	v_mov_b32_e32 v1, v16
	;; [unrolled: 2-line block ×3, first 2 shown]
	global_load_dwordx4 v[1:4], v[9:10], off
	global_load_dwordx4 v[5:8], v[13:14], off
	v_lshlrev_b64 v[9:10], 4, v[11:12]
	v_mov_b32_e32 v16, v18
	v_add_co_u32_e64 v17, s[0:1], v65, v9
	v_addc_co_u32_e64 v18, s[0:1], v66, v10, s[0:1]
	v_lshlrev_b64 v[9:10], 4, v[15:16]
	v_add_u32_e32 v43, 0x75, v140
	v_add_co_u32_e64 v19, s[0:1], v65, v9
	v_addc_co_u32_e64 v20, s[0:1], v66, v10, s[0:1]
	global_load_dwordx4 v[9:12], v[17:18], off
	global_load_dwordx4 v[13:16], v[19:20], off
	v_mad_u64_u32 v[17:18], s[0:1], s2, v141, 0
	v_mad_u64_u32 v[19:20], s[0:1], s2, v23, 0
	v_add_u32_e32 v50, 0x8f, v140
	v_add_u32_e32 v59, 0xa9, v140
	v_mad_u64_u32 v[21:22], s[0:1], s3, v141, v[18:19]
	v_mov_b32_e32 v18, v20
	v_mad_u64_u32 v[22:23], s[0:1], s3, v23, v[18:19]
	v_mov_b32_e32 v18, v21
	v_lshlrev_b64 v[17:18], 4, v[17:18]
	v_mov_b32_e32 v20, v22
	v_add_co_u32_e64 v25, s[0:1], v65, v17
	v_addc_co_u32_e64 v26, s[0:1], v66, v18, s[0:1]
	v_lshlrev_b64 v[17:18], 4, v[19:20]
	v_add_u32_e32 v19, 0x4e, v140
	v_mad_u64_u32 v[27:28], s[0:1], s2, v19, 0
	v_add_co_u32_e64 v29, s[0:1], v65, v17
	v_mov_b32_e32 v17, v28
	v_addc_co_u32_e64 v30, s[0:1], v66, v18, s[0:1]
	v_mad_u64_u32 v[31:32], s[0:1], s3, v19, v[17:18]
	v_mad_u64_u32 v[32:33], s[0:1], s2, v34, 0
	v_mov_b32_e32 v28, v31
	global_load_dwordx4 v[17:20], v[25:26], off
	global_load_dwordx4 v[21:24], v[29:30], off
	v_lshlrev_b64 v[25:26], 4, v[27:28]
	v_mov_b32_e32 v27, v33
	v_mad_u64_u32 v[27:28], s[0:1], s3, v34, v[27:28]
	v_add_co_u32_e64 v34, s[0:1], v65, v25
	v_mov_b32_e32 v33, v27
	v_add_u32_e32 v27, 0x68, v140
	v_addc_co_u32_e64 v35, s[0:1], v66, v26, s[0:1]
	v_mad_u64_u32 v[36:37], s[0:1], s2, v27, 0
	v_lshlrev_b64 v[25:26], 4, v[32:33]
	v_mov_b32_e32 v148, v143
	v_add_co_u32_e64 v38, s[0:1], v65, v25
	v_mov_b32_e32 v25, v37
	v_addc_co_u32_e64 v39, s[0:1], v66, v26, s[0:1]
	v_mad_u64_u32 v[40:41], s[0:1], s3, v27, v[25:26]
	v_mad_u64_u32 v[41:42], s[0:1], s2, v43, 0
	global_load_dwordx4 v[25:28], v[34:35], off
	global_load_dwordx4 v[29:32], v[38:39], off
	v_mov_b32_e32 v37, v40
	v_mov_b32_e32 v35, v42
	v_lshlrev_b64 v[33:34], 4, v[36:37]
	v_mad_u64_u32 v[35:36], s[0:1], s3, v43, v[35:36]
	v_add_co_u32_e64 v43, s[0:1], v65, v33
	v_mov_b32_e32 v42, v35
	v_add_u32_e32 v35, 0x82, v140
	v_addc_co_u32_e64 v44, s[0:1], v66, v34, s[0:1]
	v_lshlrev_b64 v[33:34], 4, v[41:42]
	v_mad_u64_u32 v[41:42], s[0:1], s2, v35, 0
	v_add_co_u32_e64 v45, s[0:1], v65, v33
	v_mov_b32_e32 v33, v42
	v_addc_co_u32_e64 v46, s[0:1], v66, v34, s[0:1]
	v_mad_u64_u32 v[47:48], s[0:1], s3, v35, v[33:34]
	v_mad_u64_u32 v[48:49], s[0:1], s2, v50, 0
	global_load_dwordx4 v[33:36], v[43:44], off
	global_load_dwordx4 v[37:40], v[45:46], off
	v_mov_b32_e32 v42, v47
	v_mov_b32_e32 v43, v49
	v_mad_u64_u32 v[43:44], s[0:1], s3, v50, v[43:44]
	v_lshlrev_b64 v[41:42], 4, v[41:42]
	v_add_co_u32_e64 v50, s[0:1], v65, v41
	v_mov_b32_e32 v49, v43
	v_add_u32_e32 v43, 0x9c, v140
	v_addc_co_u32_e64 v51, s[0:1], v66, v42, s[0:1]
	v_mad_u64_u32 v[52:53], s[0:1], s2, v43, 0
	v_lshlrev_b64 v[41:42], 4, v[48:49]
	v_add_co_u32_e64 v54, s[0:1], v65, v41
	v_mov_b32_e32 v41, v53
	v_addc_co_u32_e64 v55, s[0:1], v66, v42, s[0:1]
	v_mad_u64_u32 v[56:57], s[0:1], s3, v43, v[41:42]
	v_mad_u64_u32 v[57:58], s[0:1], s2, v59, 0
	global_load_dwordx4 v[41:44], v[50:51], off
	global_load_dwordx4 v[45:48], v[54:55], off
	v_mov_b32_e32 v53, v56
	v_mov_b32_e32 v51, v58
	v_lshlrev_b64 v[49:50], 4, v[52:53]
	v_mad_u64_u32 v[51:52], s[0:1], s3, v59, v[51:52]
	v_add_u32_e32 v52, 0xb6, v140
	v_mad_u64_u32 v[59:60], s[0:1], s2, v52, 0
	v_add_co_u32_e64 v61, s[0:1], v65, v49
	v_mov_b32_e32 v58, v51
	v_addc_co_u32_e64 v62, s[0:1], v66, v50, s[0:1]
	v_lshlrev_b64 v[49:50], 4, v[57:58]
	v_mov_b32_e32 v51, v60
	v_mad_u64_u32 v[57:58], s[0:1], s3, v52, v[51:52]
	v_add_co_u32_e64 v63, s[0:1], v65, v49
	v_addc_co_u32_e64 v64, s[0:1], v66, v50, s[0:1]
	global_load_dwordx4 v[49:52], v[61:62], off
	global_load_dwordx4 v[53:56], v[63:64], off
	v_mov_b32_e32 v60, v57
	v_lshlrev_b64 v[57:58], 4, v[59:60]
	v_add3_u32 v61, 0, v147, v0
	v_add_co_u32_e64 v57, s[0:1], v65, v57
	v_addc_co_u32_e64 v58, s[0:1], v66, v58, s[0:1]
	global_load_dwordx4 v[57:60], v[57:58], off
	s_waitcnt vmcnt(14)
	ds_write_b128 v61, v[1:4]
	s_waitcnt vmcnt(13)
	ds_write_b128 v61, v[5:8] offset:208
	s_waitcnt vmcnt(12)
	ds_write_b128 v61, v[9:12] offset:416
	;; [unrolled: 2-line block ×14, first 2 shown]
.LBB0_13:
	s_or_b64 exec, exec, s[4:5]
	v_add_u32_e32 v60, 0, v147
	v_add_u32_e32 v145, v60, v0
	;; [unrolled: 1-line block ×4, first 2 shown]
	s_waitcnt lgkmcnt(0)
	; wave barrier
	s_waitcnt lgkmcnt(0)
	ds_read_b128 v[56:59], v146 offset:240
	ds_read_b128 v[52:55], v145
	ds_read_b128 v[0:3], v146 offset:208
	ds_read_b128 v[44:47], v146 offset:448
	;; [unrolled: 1-line block ×6, first 2 shown]
	s_waitcnt lgkmcnt(6)
	v_add_f64 v[4:5], v[52:53], v[56:57]
	v_add_f64 v[6:7], v[54:55], v[58:59]
	ds_read_b128 v[8:11], v146 offset:960
	ds_read_b128 v[36:39], v146 offset:1168
	s_mov_b32 s26, 0x42a4c3d2
	s_mov_b32 s4, 0x2ef20147
	;; [unrolled: 1-line block ×4, first 2 shown]
	s_waitcnt lgkmcnt(5)
	v_add_f64 v[4:5], v[4:5], v[61:62]
	v_add_f64 v[6:7], v[6:7], v[63:64]
	s_mov_b32 s30, 0x4267c47c
	s_mov_b32 s18, 0x1ea71119
	;; [unrolled: 1-line block ×6, first 2 shown]
	s_waitcnt lgkmcnt(3)
	v_add_f64 v[4:5], v[4:5], v[12:13]
	v_add_f64 v[6:7], v[6:7], v[14:15]
	s_mov_b32 s31, 0xbfddbe06
	s_mov_b32 s19, 0x3fe22d96
	ds_read_b128 v[32:35], v146 offset:1408
	s_mov_b32 s17, 0xbfefc445
	s_mov_b32 s11, 0xbfd6b1d8
	;; [unrolled: 1-line block ×3, first 2 shown]
	s_waitcnt lgkmcnt(2)
	v_add_f64 v[16:17], v[4:5], v[8:9]
	v_add_f64 v[18:19], v[6:7], v[10:11]
	ds_read_b128 v[4:7], v146 offset:1200
	s_mov_b32 s21, 0xbfcea1e5
	s_mov_b32 s24, 0xe00740e9
	;; [unrolled: 1-line block ×5, first 2 shown]
	s_waitcnt lgkmcnt(0)
	v_add_f64 v[20:21], v[16:17], v[4:5]
	v_add_f64 v[22:23], v[18:19], v[6:7]
	ds_read_b128 v[16:19], v146 offset:1440
	ds_read_b128 v[65:68], v146 offset:1680
	;; [unrolled: 1-line block ×5, first 2 shown]
	s_mov_b32 s25, 0x3fec55a7
	s_waitcnt lgkmcnt(3)
	v_add_f64 v[85:86], v[16:17], v[65:66]
	v_add_f64 v[73:74], v[20:21], v[16:17]
	;; [unrolled: 1-line block ×4, first 2 shown]
	v_add_f64 v[96:97], v[16:17], -v[65:66]
	v_add_f64 v[98:99], v[18:19], -v[67:68]
	ds_read_b128 v[20:23], v146 offset:2128
	s_waitcnt lgkmcnt(1)
	v_add_f64 v[100:101], v[4:5], v[69:70]
	v_add_f64 v[102:103], v[6:7], v[71:72]
	v_add_f64 v[16:17], v[73:74], v[65:66]
	v_add_f64 v[18:19], v[75:76], v[67:68]
	ds_read_b128 v[65:68], v146 offset:2160
	v_add_f64 v[104:105], v[4:5], -v[69:70]
	v_add_f64 v[106:107], v[6:7], -v[71:72]
	ds_read_b128 v[4:7], v146 offset:2368
	ds_read_b128 v[73:76], v146 offset:2400
	s_waitcnt lgkmcnt(2)
	v_add_f64 v[108:109], v[8:9], v[65:66]
	v_add_f64 v[81:82], v[16:17], v[69:70]
	;; [unrolled: 1-line block ×4, first 2 shown]
	v_add_f64 v[112:113], v[8:9], -v[65:66]
	v_add_f64 v[114:115], v[10:11], -v[67:68]
	ds_read_b128 v[8:11], v146 offset:2608
	ds_read_b128 v[69:72], v146 offset:2640
	;; [unrolled: 1-line block ×4, first 2 shown]
	v_add_f64 v[65:66], v[81:82], v[65:66]
	v_add_f64 v[67:68], v[83:84], v[67:68]
	s_waitcnt lgkmcnt(4)
	v_add_f64 v[116:117], v[12:13], v[73:74]
	s_waitcnt lgkmcnt(2)
	;; [unrolled: 2-line block ×3, first 2 shown]
	v_add_f64 v[81:82], v[58:59], -v[79:80]
	v_add_f64 v[130:131], v[63:64], -v[71:72]
	v_add_f64 v[63:64], v[58:59], v[79:80]
	v_add_f64 v[120:121], v[12:13], -v[73:74]
	v_add_f64 v[58:59], v[65:66], v[73:74]
	v_add_f64 v[65:66], v[67:68], v[75:76]
	v_add_f64 v[124:125], v[61:62], v[69:70]
	v_add_f64 v[128:129], v[61:62], -v[69:70]
	v_add_f64 v[61:62], v[56:57], v[77:78]
	v_add_f64 v[73:74], v[56:57], -v[77:78]
	v_mul_f64 v[56:57], v[81:82], s[26:27]
	v_mul_f64 v[83:84], v[81:82], s[4:5]
	v_add_f64 v[58:59], v[58:59], v[69:70]
	v_add_f64 v[65:66], v[65:66], v[71:72]
	;; [unrolled: 1-line block ×3, first 2 shown]
	v_add_f64 v[122:123], v[14:15], -v[75:76]
	v_mul_f64 v[67:68], v[81:82], s[30:31]
	v_mul_f64 v[75:76], v[81:82], s[16:17]
	;; [unrolled: 1-line block ×3, first 2 shown]
	v_fma_f64 v[71:72], v[61:62], s[18:19], -v[56:57]
	v_fma_f64 v[92:93], v[61:62], s[18:19], v[56:57]
	v_add_f64 v[56:57], v[58:59], v[77:78]
	v_add_f64 v[58:59], v[65:66], v[79:80]
	v_mul_f64 v[65:66], v[81:82], s[20:21]
	v_fma_f64 v[77:78], v[61:62], s[10:11], -v[83:84]
	v_fma_f64 v[79:80], v[61:62], s[10:11], v[83:84]
	v_mul_f64 v[83:84], v[73:74], s[30:31]
	s_mov_b32 s7, 0x3fbedb7d
	s_mov_b32 s29, 0xbfe7f3cc
	;; [unrolled: 1-line block ×3, first 2 shown]
	v_fma_f64 v[69:70], v[61:62], s[24:25], -v[67:68]
	v_fma_f64 v[67:68], v[61:62], s[24:25], v[67:68]
	v_fma_f64 v[132:133], v[61:62], s[6:7], -v[75:76]
	v_fma_f64 v[75:76], v[61:62], s[6:7], v[75:76]
	;; [unrolled: 2-line block ×3, first 2 shown]
	v_fma_f64 v[134:135], v[61:62], s[22:23], -v[65:66]
	v_mul_f64 v[136:137], v[73:74], s[26:27]
	v_fma_f64 v[61:62], v[61:62], s[22:23], v[65:66]
	v_mul_f64 v[65:66], v[73:74], s[16:17]
	v_fma_f64 v[138:139], v[63:64], s[24:25], v[83:84]
	v_mul_f64 v[149:150], v[73:74], s[4:5]
	v_mul_f64 v[151:152], v[73:74], s[14:15]
	;; [unrolled: 1-line block ×3, first 2 shown]
	v_fma_f64 v[83:84], v[63:64], s[24:25], -v[83:84]
	v_fma_f64 v[153:154], v[63:64], s[18:19], v[136:137]
	v_fma_f64 v[136:137], v[63:64], s[18:19], -v[136:137]
	v_fma_f64 v[155:156], v[63:64], s[6:7], v[65:66]
	;; [unrolled: 2-line block ×5, first 2 shown]
	v_fma_f64 v[63:64], v[63:64], s[22:23], -v[73:74]
	v_add_f64 v[73:74], v[54:55], v[138:139]
	v_mul_f64 v[138:139], v[130:131], s[26:27]
	v_add_f64 v[69:70], v[52:53], v[69:70]
	v_add_f64 v[163:164], v[54:55], v[65:66]
	v_mul_f64 v[167:168], v[122:123], s[16:17]
	v_mul_f64 v[165:166], v[128:129], s[26:27]
	v_add_f64 v[169:170], v[52:53], v[79:80]
	v_mul_f64 v[173:174], v[114:115], s[4:5]
	v_mul_f64 v[171:172], v[120:121], s[16:17]
	v_fma_f64 v[65:66], v[124:125], s[18:19], -v[138:139]
	v_mul_f64 v[177:178], v[106:107], s[14:15]
	v_add_f64 v[67:68], v[52:53], v[67:68]
	v_fma_f64 v[79:80], v[116:117], s[6:7], -v[167:168]
	v_add_f64 v[83:84], v[54:55], v[83:84]
	v_add_f64 v[153:154], v[54:55], v[153:154]
	;; [unrolled: 1-line block ×5, first 2 shown]
	v_fma_f64 v[69:70], v[126:127], s[18:19], v[165:166]
	v_add_f64 v[157:158], v[54:55], v[157:158]
	v_add_f64 v[149:150], v[54:55], v[149:150]
	;; [unrolled: 1-line block ×5, first 2 shown]
	v_fma_f64 v[138:139], v[124:125], s[18:19], v[138:139]
	v_add_f64 v[65:66], v[79:80], v[65:66]
	v_fma_f64 v[79:80], v[108:109], s[10:11], -v[173:174]
	v_add_f64 v[69:70], v[69:70], v[73:74]
	v_fma_f64 v[73:74], v[118:119], s[6:7], v[171:172]
	v_add_f64 v[181:182], v[54:55], v[63:64]
	v_fma_f64 v[63:64], v[100:101], s[28:29], -v[177:178]
	v_add_f64 v[71:72], v[52:53], v[71:72]
	v_add_f64 v[92:93], v[52:53], v[92:93]
	;; [unrolled: 1-line block ×9, first 2 shown]
	v_mul_f64 v[90:91], v[112:113], s[4:5]
	v_add_f64 v[179:180], v[52:53], v[61:62]
	v_add_f64 v[52:53], v[73:74], v[69:70]
	;; [unrolled: 1-line block ×3, first 2 shown]
	v_fma_f64 v[69:70], v[126:127], s[18:19], -v[165:166]
	v_mul_f64 v[79:80], v[130:131], s[4:5]
	v_fma_f64 v[138:139], v[116:117], s[6:7], v[167:168]
	v_add_f64 v[54:55], v[63:64], v[54:55]
	v_mul_f64 v[63:64], v[128:129], s[4:5]
	v_fma_f64 v[61:62], v[110:111], s[10:11], v[90:91]
	v_mul_f64 v[65:66], v[104:105], s[14:15]
	v_mul_f64 v[167:168], v[122:123], s[20:21]
	v_add_f64 v[69:70], v[69:70], v[83:84]
	v_fma_f64 v[83:84], v[124:125], s[10:11], -v[79:80]
	v_add_f64 v[67:68], v[138:139], v[67:68]
	v_fma_f64 v[138:139], v[118:119], s[6:7], -v[171:172]
	v_fma_f64 v[171:172], v[126:127], s[10:11], v[63:64]
	v_mul_f64 v[185:186], v[120:121], s[20:21]
	s_mov_b32 s37, 0x3fe5384d
	s_mov_b32 s36, s14
	v_add_f64 v[52:53], v[61:62], v[52:53]
	v_fma_f64 v[61:62], v[102:103], s[28:29], v[65:66]
	v_add_f64 v[71:72], v[83:84], v[71:72]
	v_fma_f64 v[83:84], v[116:117], s[22:23], -v[167:168]
	v_mul_f64 v[187:188], v[114:115], s[36:37]
	v_add_f64 v[153:154], v[171:172], v[153:154]
	v_fma_f64 v[171:172], v[118:119], s[22:23], v[185:186]
	v_mul_f64 v[189:190], v[112:113], s[36:37]
	s_mov_b32 s43, 0x3fefc445
	s_mov_b32 s42, s16
	v_mul_f64 v[73:74], v[98:99], s[20:21]
	v_mul_f64 v[165:166], v[96:97], s[20:21]
	v_fma_f64 v[173:174], v[108:109], s[10:11], v[173:174]
	v_add_f64 v[61:62], v[61:62], v[52:53]
	v_add_f64 v[52:53], v[138:139], v[69:70]
	v_fma_f64 v[69:70], v[110:111], s[10:11], -v[90:91]
	v_add_f64 v[71:72], v[83:84], v[71:72]
	v_fma_f64 v[83:84], v[108:109], s[28:29], -v[187:188]
	v_add_f64 v[90:91], v[171:172], v[153:154]
	v_fma_f64 v[138:139], v[110:111], s[28:29], v[189:190]
	v_mul_f64 v[153:154], v[106:107], s[42:43]
	v_mul_f64 v[171:172], v[104:105], s[42:43]
	v_fma_f64 v[183:184], v[85:86], s[22:23], -v[73:74]
	v_fma_f64 v[191:192], v[94:95], s[22:23], v[165:166]
	v_add_f64 v[67:68], v[173:174], v[67:68]
	v_fma_f64 v[173:174], v[100:101], s[28:29], v[177:178]
	v_add_f64 v[69:70], v[69:70], v[52:53]
	v_fma_f64 v[65:66], v[102:103], s[28:29], -v[65:66]
	v_add_f64 v[71:72], v[83:84], v[71:72]
	v_add_f64 v[83:84], v[138:139], v[90:91]
	v_fma_f64 v[90:91], v[100:101], s[6:7], -v[153:154]
	v_fma_f64 v[138:139], v[102:103], s[6:7], v[171:172]
	v_fma_f64 v[79:80], v[124:125], s[10:11], v[79:80]
	v_fma_f64 v[63:64], v[126:127], s[10:11], -v[63:64]
	v_add_f64 v[52:53], v[183:184], v[54:55]
	v_add_f64 v[54:55], v[191:192], v[61:62]
	;; [unrolled: 1-line block ×7, first 2 shown]
	v_fma_f64 v[79:80], v[116:117], s[22:23], v[167:168]
	v_add_f64 v[63:64], v[63:64], v[136:137]
	v_fma_f64 v[83:84], v[118:119], s[22:23], -v[185:186]
	s_mov_b32 s47, 0x3fddbe06
	s_mov_b32 s46, s30
	v_mul_f64 v[90:91], v[98:99], s[46:47]
	v_mul_f64 v[92:93], v[96:97], s[46:47]
	v_fma_f64 v[73:74], v[85:86], s[22:23], v[73:74]
	v_fma_f64 v[136:137], v[94:95], s[22:23], -v[165:166]
	v_add_f64 v[71:72], v[79:80], v[71:72]
	v_add_f64 v[79:80], v[83:84], v[63:64]
	v_fma_f64 v[83:84], v[108:109], s[28:29], v[187:188]
	v_fma_f64 v[138:139], v[110:111], s[28:29], -v[189:190]
	v_mul_f64 v[173:174], v[130:131], s[20:21]
	v_mul_f64 v[177:178], v[128:129], s[20:21]
	s_mov_b32 s41, 0x3fedeba7
	s_mov_b32 s40, s4
	v_fma_f64 v[165:166], v[85:86], s[24:25], -v[90:91]
	v_fma_f64 v[167:168], v[94:95], s[24:25], v[92:93]
	v_add_f64 v[61:62], v[73:74], v[61:62]
	v_add_f64 v[63:64], v[136:137], v[65:66]
	;; [unrolled: 1-line block ×4, first 2 shown]
	v_fma_f64 v[79:80], v[100:101], s[6:7], v[153:154]
	v_fma_f64 v[83:84], v[102:103], s[6:7], -v[171:172]
	v_fma_f64 v[136:137], v[124:125], s[22:23], -v[173:174]
	v_fma_f64 v[138:139], v[126:127], s[22:23], v[177:178]
	v_mul_f64 v[153:154], v[122:123], s[40:41]
	v_mul_f64 v[171:172], v[120:121], s[40:41]
	v_add_f64 v[65:66], v[165:166], v[67:68]
	v_add_f64 v[67:68], v[167:168], v[69:70]
	;; [unrolled: 1-line block ×6, first 2 shown]
	v_fma_f64 v[83:84], v[116:117], s[10:11], -v[153:154]
	v_fma_f64 v[132:133], v[118:119], s[10:11], v[171:172]
	v_mul_f64 v[136:137], v[114:115], s[46:47]
	v_mul_f64 v[138:139], v[112:113], s[46:47]
	v_fma_f64 v[90:91], v[85:86], s[24:25], v[90:91]
	v_fma_f64 v[155:156], v[124:125], s[22:23], v[173:174]
	v_fma_f64 v[165:166], v[126:127], s[22:23], -v[177:178]
	v_mul_f64 v[167:168], v[106:107], s[26:27]
	v_add_f64 v[73:74], v[83:84], v[73:74]
	v_add_f64 v[79:80], v[132:133], v[79:80]
	v_fma_f64 v[83:84], v[108:109], s[24:25], -v[136:137]
	v_fma_f64 v[132:133], v[110:111], s[24:25], v[138:139]
	v_mul_f64 v[173:174], v[104:105], s[26:27]
	v_fma_f64 v[92:93], v[94:95], s[24:25], -v[92:93]
	v_add_f64 v[75:76], v[155:156], v[75:76]
	v_add_f64 v[155:156], v[165:166], v[163:164]
	v_fma_f64 v[153:154], v[116:117], s[10:11], v[153:154]
	v_fma_f64 v[163:164], v[118:119], s[10:11], -v[171:172]
	v_add_f64 v[69:70], v[90:91], v[69:70]
	v_add_f64 v[73:74], v[83:84], v[73:74]
	;; [unrolled: 1-line block ×3, first 2 shown]
	v_fma_f64 v[83:84], v[100:101], s[18:19], -v[167:168]
	v_fma_f64 v[90:91], v[102:103], s[18:19], v[173:174]
	v_add_f64 v[71:72], v[92:93], v[71:72]
	v_add_f64 v[75:76], v[153:154], v[75:76]
	;; [unrolled: 1-line block ×3, first 2 shown]
	v_fma_f64 v[132:133], v[108:109], s[24:25], v[136:137]
	v_fma_f64 v[136:137], v[110:111], s[24:25], -v[138:139]
	v_mul_f64 v[138:139], v[98:99], s[14:15]
	v_add_f64 v[73:74], v[83:84], v[73:74]
	v_add_f64 v[79:80], v[90:91], v[79:80]
	v_mul_f64 v[83:84], v[130:131], s[36:37]
	v_mul_f64 v[90:91], v[128:129], s[36:37]
	;; [unrolled: 1-line block ×3, first 2 shown]
	v_add_f64 v[75:76], v[132:133], v[75:76]
	v_add_f64 v[92:93], v[136:137], v[92:93]
	v_fma_f64 v[132:133], v[100:101], s[18:19], v[167:168]
	v_fma_f64 v[136:137], v[102:103], s[18:19], -v[173:174]
	v_mul_f64 v[171:172], v[122:123], s[46:47]
	v_fma_f64 v[165:166], v[124:125], s[28:29], -v[83:84]
	v_fma_f64 v[167:168], v[126:127], s[28:29], v[90:91]
	v_mul_f64 v[173:174], v[120:121], s[46:47]
	v_fma_f64 v[155:156], v[85:86], s[28:29], -v[138:139]
	v_fma_f64 v[163:164], v[94:95], s[28:29], v[153:154]
	v_add_f64 v[132:133], v[132:133], v[75:76]
	v_add_f64 v[92:93], v[136:137], v[92:93]
	v_fma_f64 v[136:137], v[85:86], s[28:29], v[138:139]
	v_fma_f64 v[138:139], v[94:95], s[28:29], -v[153:154]
	v_add_f64 v[153:154], v[165:166], v[77:78]
	v_add_f64 v[157:158], v[167:168], v[157:158]
	v_fma_f64 v[165:166], v[116:117], s[24:25], -v[171:172]
	v_fma_f64 v[167:168], v[118:119], s[24:25], v[173:174]
	v_mul_f64 v[177:178], v[114:115], s[16:17]
	v_mul_f64 v[183:184], v[112:113], s[16:17]
	v_add_f64 v[75:76], v[163:164], v[79:80]
	v_add_f64 v[77:78], v[136:137], v[132:133]
	;; [unrolled: 1-line block ×3, first 2 shown]
	v_fma_f64 v[83:84], v[124:125], s[28:29], v[83:84]
	v_add_f64 v[92:93], v[165:166], v[153:154]
	v_add_f64 v[132:133], v[167:168], v[157:158]
	v_fma_f64 v[136:137], v[108:109], s[6:7], -v[177:178]
	v_fma_f64 v[138:139], v[110:111], s[6:7], v[183:184]
	v_fma_f64 v[90:91], v[126:127], s[28:29], -v[90:91]
	s_mov_b32 s35, 0x3fcea1e5
	s_mov_b32 s34, s20
	v_add_f64 v[73:74], v[155:156], v[73:74]
	v_mul_f64 v[155:156], v[104:105], s[34:35]
	v_add_f64 v[83:84], v[83:84], v[169:170]
	v_add_f64 v[92:93], v[136:137], v[92:93]
	;; [unrolled: 1-line block ×4, first 2 shown]
	v_fma_f64 v[136:137], v[116:117], s[24:25], v[171:172]
	v_fma_f64 v[138:139], v[118:119], s[24:25], -v[173:174]
	v_mul_f64 v[153:154], v[106:107], s[34:35]
	v_fma_f64 v[157:158], v[102:103], s[22:23], v[155:156]
	v_mul_f64 v[169:170], v[128:129], s[42:43]
	s_mov_b32 s45, 0x3fea55e2
	s_mov_b32 s44, s26
	v_mul_f64 v[163:164], v[98:99], s[44:45]
	v_add_f64 v[83:84], v[136:137], v[83:84]
	v_mul_f64 v[136:137], v[130:131], s[42:43]
	v_add_f64 v[90:91], v[138:139], v[90:91]
	v_fma_f64 v[138:139], v[108:109], s[6:7], v[177:178]
	v_fma_f64 v[149:150], v[100:101], s[22:23], -v[153:154]
	v_fma_f64 v[167:168], v[110:111], s[6:7], -v[183:184]
	v_add_f64 v[132:133], v[157:158], v[132:133]
	v_mul_f64 v[171:172], v[122:123], s[26:27]
	v_mul_f64 v[177:178], v[120:121], s[26:27]
	v_fma_f64 v[157:158], v[124:125], s[6:7], -v[136:137]
	v_mul_f64 v[165:166], v[96:97], s[44:45]
	v_add_f64 v[83:84], v[138:139], v[83:84]
	v_fma_f64 v[138:139], v[126:127], s[6:7], v[169:170]
	v_add_f64 v[92:93], v[149:150], v[92:93]
	v_fma_f64 v[149:150], v[85:86], s[18:19], -v[163:164]
	v_add_f64 v[90:91], v[167:168], v[90:91]
	v_fma_f64 v[153:154], v[100:101], s[22:23], v[153:154]
	v_add_f64 v[157:158], v[157:158], v[81:82]
	v_fma_f64 v[167:168], v[116:117], s[18:19], -v[171:172]
	v_mul_f64 v[183:184], v[114:115], s[34:35]
	v_fma_f64 v[155:156], v[102:103], s[22:23], -v[155:156]
	v_add_f64 v[138:139], v[138:139], v[159:160]
	v_fma_f64 v[159:160], v[118:119], s[18:19], v[177:178]
	v_mul_f64 v[185:186], v[112:113], s[34:35]
	v_fma_f64 v[173:174], v[94:95], s[18:19], v[165:166]
	v_add_f64 v[81:82], v[149:150], v[92:93]
	v_add_f64 v[92:93], v[153:154], v[83:84]
	;; [unrolled: 1-line block ×3, first 2 shown]
	v_fma_f64 v[149:150], v[108:109], s[22:23], -v[183:184]
	v_add_f64 v[155:156], v[155:156], v[90:91]
	v_add_f64 v[90:91], v[159:160], v[138:139]
	v_fma_f64 v[138:139], v[110:111], s[22:23], v[185:186]
	v_fma_f64 v[159:160], v[85:86], s[18:19], v[163:164]
	v_fma_f64 v[163:164], v[94:95], s[18:19], -v[165:166]
	v_mul_f64 v[130:131], v[130:131], s[46:47]
	v_mul_f64 v[128:129], v[128:129], s[46:47]
	v_add_f64 v[149:150], v[149:150], v[83:84]
	v_add_f64 v[83:84], v[173:174], v[132:133]
	v_fma_f64 v[132:133], v[124:125], s[6:7], v[136:137]
	v_add_f64 v[136:137], v[138:139], v[90:91]
	v_add_f64 v[90:91], v[159:160], v[92:93]
	;; [unrolled: 1-line block ×3, first 2 shown]
	v_fma_f64 v[155:156], v[126:127], s[6:7], -v[169:170]
	v_fma_f64 v[163:164], v[116:117], s[18:19], v[171:172]
	v_fma_f64 v[167:168], v[124:125], s[24:25], -v[130:131]
	v_mul_f64 v[122:123], v[122:123], s[14:15]
	v_add_f64 v[132:133], v[132:133], v[175:176]
	v_fma_f64 v[171:172], v[126:127], s[24:25], v[128:129]
	v_mul_f64 v[120:121], v[120:121], s[14:15]
	v_fma_f64 v[124:125], v[124:125], s[24:25], v[130:131]
	v_add_f64 v[151:152], v[155:156], v[151:152]
	v_fma_f64 v[155:156], v[118:119], s[18:19], -v[177:178]
	v_fma_f64 v[126:127], v[126:127], s[24:25], -v[128:129]
	v_mul_f64 v[157:158], v[104:105], s[46:47]
	v_add_f64 v[132:133], v[163:164], v[132:133]
	v_fma_f64 v[163:164], v[108:109], s[22:23], v[183:184]
	v_add_f64 v[134:135], v[167:168], v[134:135]
	v_add_f64 v[128:129], v[171:172], v[161:162]
	v_mul_f64 v[114:115], v[114:115], s[44:45]
	v_add_f64 v[151:152], v[155:156], v[151:152]
	v_fma_f64 v[155:156], v[110:111], s[22:23], -v[185:186]
	v_mul_f64 v[112:113], v[112:113], s[44:45]
	v_add_f64 v[124:125], v[124:125], v[179:180]
	v_add_f64 v[132:133], v[163:164], v[132:133]
	v_fma_f64 v[163:164], v[116:117], s[28:29], -v[122:123]
	v_fma_f64 v[116:117], v[116:117], s[28:29], v[122:123]
	v_add_f64 v[122:123], v[126:127], v[181:182]
	v_mul_f64 v[153:154], v[106:107], s[46:47]
	v_add_f64 v[130:131], v[155:156], v[151:152]
	v_fma_f64 v[151:152], v[118:119], s[28:29], v[120:121]
	v_fma_f64 v[118:119], v[118:119], s[28:29], -v[120:121]
	v_fma_f64 v[138:139], v[102:103], s[24:25], v[157:158]
	v_add_f64 v[134:135], v[163:164], v[134:135]
	v_fma_f64 v[126:127], v[108:109], s[18:19], -v[114:115]
	v_mul_f64 v[106:107], v[106:107], s[4:5]
	v_mul_f64 v[104:105], v[104:105], s[4:5]
	v_add_f64 v[116:117], v[116:117], v[124:125]
	v_add_f64 v[120:121], v[151:152], v[128:129]
	v_fma_f64 v[151:152], v[110:111], s[18:19], v[112:113]
	v_add_f64 v[118:119], v[118:119], v[122:123]
	v_fma_f64 v[108:109], v[108:109], s[18:19], v[114:115]
	v_fma_f64 v[110:111], v[110:111], s[18:19], -v[112:113]
	v_fma_f64 v[165:166], v[100:101], s[24:25], -v[153:154]
	v_mul_f64 v[159:160], v[98:99], s[4:5]
	v_add_f64 v[136:137], v[138:139], v[136:137]
	v_mul_f64 v[138:139], v[96:97], s[4:5]
	v_add_f64 v[114:115], v[126:127], v[134:135]
	v_fma_f64 v[122:123], v[100:101], s[10:11], -v[106:107]
	v_add_f64 v[120:121], v[151:152], v[120:121]
	v_fma_f64 v[126:127], v[102:103], s[10:11], v[104:105]
	v_mul_f64 v[98:99], v[98:99], s[42:43]
	v_mul_f64 v[96:97], v[96:97], s[42:43]
	v_fma_f64 v[153:154], v[100:101], s[24:25], v[153:154]
	v_fma_f64 v[128:129], v[102:103], s[24:25], -v[157:158]
	v_add_f64 v[108:109], v[108:109], v[116:117]
	v_add_f64 v[110:111], v[110:111], v[118:119]
	v_fma_f64 v[100:101], v[100:101], s[10:11], v[106:107]
	v_fma_f64 v[102:103], v[102:103], s[10:11], -v[104:105]
	v_add_f64 v[149:150], v[165:166], v[149:150]
	v_fma_f64 v[165:166], v[85:86], s[10:11], -v[159:160]
	v_fma_f64 v[169:170], v[94:95], s[10:11], v[138:139]
	v_add_f64 v[104:105], v[122:123], v[114:115]
	v_add_f64 v[106:107], v[126:127], v[120:121]
	v_fma_f64 v[118:119], v[85:86], s[6:7], -v[98:99]
	v_fma_f64 v[120:121], v[94:95], s[6:7], v[96:97]
	v_fma_f64 v[114:115], v[85:86], s[10:11], v[159:160]
	v_add_f64 v[108:109], v[100:101], v[108:109]
	v_add_f64 v[110:111], v[102:103], v[110:111]
	v_fma_f64 v[85:86], v[85:86], s[6:7], v[98:99]
	v_fma_f64 v[122:123], v[94:95], s[6:7], -v[96:97]
	v_add_f64 v[112:113], v[153:154], v[132:133]
	v_add_f64 v[124:125], v[128:129], v[130:131]
	v_fma_f64 v[116:117], v[94:95], s[10:11], -v[138:139]
	ds_read_b128 v[12:15], v146 offset:3088
	v_add_f64 v[94:95], v[165:166], v[149:150]
	v_add_f64 v[96:97], v[169:170], v[136:137]
	;; [unrolled: 1-line block ×4, first 2 shown]
	s_movk_i32 s0, 0xd0
	v_add_f64 v[106:107], v[85:86], v[108:109]
	v_add_f64 v[108:109], v[122:123], v[110:111]
	v_mad_u32_u24 v60, v140, s0, v60
	v_cmp_gt_u32_e64 s[0:1], 2, v140
	v_add_f64 v[98:99], v[114:115], v[112:113]
	v_add_f64 v[100:101], v[116:117], v[124:125]
	s_waitcnt lgkmcnt(0)
	; wave barrier
	s_waitcnt lgkmcnt(0)
	ds_write_b128 v60, v[56:59]
	ds_write_b128 v60, v[52:55] offset:16
	ds_write_b128 v60, v[65:68] offset:32
	;; [unrolled: 1-line block ×12, first 2 shown]
	s_and_saveexec_b64 s[38:39], s[0:1]
	s_cbranch_execz .LBB0_15
; %bb.14:
	v_add_f64 v[134:135], v[46:47], v[14:15]
	v_add_f64 v[132:133], v[50:51], v[18:19]
	v_add_f64 v[106:107], v[44:45], -v[12:13]
	v_add_f64 v[118:119], v[46:47], -v[14:15]
	v_add_f64 v[130:131], v[42:43], v[10:11]
	v_add_f64 v[100:101], v[48:49], -v[16:17]
	v_add_f64 v[122:123], v[50:51], -v[18:19]
	v_add_f64 v[112:113], v[44:45], v[12:13]
	v_mul_f64 v[52:53], v[134:135], s[22:23]
	v_mul_f64 v[54:55], v[132:133], s[24:25]
	v_add_f64 v[128:129], v[38:39], v[6:7]
	v_mul_f64 v[60:61], v[118:119], s[20:21]
	v_add_f64 v[96:97], v[40:41], -v[8:9]
	v_mul_f64 v[58:59], v[130:131], s[28:29]
	v_add_f64 v[114:115], v[42:43], -v[10:11]
	v_add_f64 v[110:111], v[48:49], v[16:17]
	v_fma_f64 v[56:57], v[106:107], s[34:35], v[52:53]
	v_fma_f64 v[62:63], v[100:101], s[30:31], v[54:55]
	v_mul_f64 v[66:67], v[122:123], s[46:47]
	v_fma_f64 v[70:71], v[112:113], s[22:23], v[60:61]
	v_fma_f64 v[52:53], v[106:107], s[20:21], v[52:53]
	v_add_f64 v[126:127], v[34:35], v[22:23]
	v_add_f64 v[92:93], v[36:37], -v[4:5]
	v_add_f64 v[124:125], v[38:39], -v[6:7]
	v_add_f64 v[56:57], v[2:3], v[56:57]
	v_mul_f64 v[64:65], v[128:129], s[18:19]
	v_fma_f64 v[68:69], v[96:97], s[36:37], v[58:59]
	v_add_f64 v[98:99], v[40:41], v[8:9]
	v_mul_f64 v[72:73], v[114:115], s[14:15]
	v_fma_f64 v[76:77], v[110:111], s[24:25], v[66:67]
	v_add_f64 v[70:71], v[0:1], v[70:71]
	v_fma_f64 v[54:55], v[100:101], s[46:47], v[54:55]
	v_add_f64 v[56:57], v[62:63], v[56:57]
	v_add_f64 v[52:53], v[2:3], v[52:53]
	v_add_f64 v[90:91], v[32:33], -v[20:21]
	v_add_f64 v[120:121], v[34:35], -v[22:23]
	v_add_f64 v[94:95], v[36:37], v[4:5]
	v_mul_f64 v[62:63], v[126:127], s[10:11]
	v_fma_f64 v[74:75], v[92:93], s[26:27], v[64:65]
	v_mul_f64 v[78:79], v[124:125], s[44:45]
	v_add_f64 v[56:57], v[68:69], v[56:57]
	v_fma_f64 v[84:85], v[98:99], s[28:29], v[72:73]
	v_add_f64 v[70:71], v[76:77], v[70:71]
	v_fma_f64 v[58:59], v[96:97], s[14:15], v[58:59]
	v_add_f64 v[52:53], v[54:55], v[52:53]
	v_add_f64 v[116:117], v[30:31], v[26:27]
	v_fma_f64 v[82:83], v[90:91], s[40:41], v[62:63]
	v_add_f64 v[102:103], v[32:33], v[20:21]
	v_add_f64 v[56:57], v[74:75], v[56:57]
	v_mul_f64 v[74:75], v[120:121], s[4:5]
	v_fma_f64 v[76:77], v[94:95], s[18:19], v[78:79]
	v_add_f64 v[70:71], v[84:85], v[70:71]
	v_fma_f64 v[64:65], v[92:93], s[44:45], v[64:65]
	v_add_f64 v[52:53], v[58:59], v[52:53]
	v_add_f64 v[80:81], v[28:29], -v[24:25]
	v_add_f64 v[108:109], v[30:31], -v[26:27]
	v_mul_f64 v[68:69], v[116:117], s[6:7]
	v_add_f64 v[56:57], v[82:83], v[56:57]
	v_fma_f64 v[82:83], v[102:103], s[10:11], v[74:75]
	v_fma_f64 v[60:61], v[112:113], s[22:23], -v[60:61]
	v_add_f64 v[70:71], v[76:77], v[70:71]
	v_fma_f64 v[62:63], v[90:91], s[4:5], v[62:63]
	v_add_f64 v[52:53], v[64:65], v[52:53]
	v_fma_f64 v[64:65], v[110:111], s[24:25], -v[66:67]
	v_mul_f64 v[66:67], v[134:135], s[28:29]
	v_fma_f64 v[54:55], v[80:81], s[16:17], v[68:69]
	v_add_f64 v[104:105], v[28:29], v[24:25]
	v_mul_f64 v[58:59], v[108:109], s[42:43]
	v_add_f64 v[60:61], v[0:1], v[60:61]
	v_add_f64 v[70:71], v[82:83], v[70:71]
	;; [unrolled: 1-line block ×3, first 2 shown]
	v_mul_f64 v[76:77], v[118:119], s[14:15]
	v_fma_f64 v[52:53], v[98:99], s[28:29], -v[72:73]
	v_mul_f64 v[72:73], v[132:133], s[6:7]
	v_fma_f64 v[82:83], v[106:107], s[36:37], v[66:67]
	v_add_f64 v[54:55], v[54:55], v[56:57]
	v_fma_f64 v[56:57], v[104:105], s[6:7], v[58:59]
	v_add_f64 v[60:61], v[64:65], v[60:61]
	v_fma_f64 v[64:65], v[104:105], s[6:7], -v[58:59]
	v_fma_f64 v[58:59], v[94:95], s[18:19], -v[78:79]
	v_mul_f64 v[78:79], v[122:123], s[42:43]
	v_fma_f64 v[84:85], v[112:113], s[28:29], v[76:77]
	v_mul_f64 v[86:87], v[130:131], s[18:19]
	v_fma_f64 v[136:137], v[100:101], s[16:17], v[72:73]
	v_add_f64 v[82:83], v[2:3], v[82:83]
	v_add_f64 v[52:53], v[52:53], v[60:61]
	v_fma_f64 v[60:61], v[102:103], s[10:11], -v[74:75]
	v_mul_f64 v[74:75], v[114:115], s[26:27]
	v_fma_f64 v[138:139], v[110:111], s[6:7], v[78:79]
	v_add_f64 v[84:85], v[0:1], v[84:85]
	v_mul_f64 v[149:150], v[128:129], s[22:23]
	v_fma_f64 v[151:152], v[96:97], s[44:45], v[86:87]
	v_add_f64 v[82:83], v[136:137], v[82:83]
	v_fma_f64 v[66:67], v[106:107], s[14:15], v[66:67]
	v_add_f64 v[52:53], v[58:59], v[52:53]
	v_mul_f64 v[136:137], v[124:125], s[34:35]
	v_fma_f64 v[58:59], v[98:99], s[18:19], v[74:75]
	v_add_f64 v[84:85], v[138:139], v[84:85]
	v_mul_f64 v[138:139], v[126:127], s[24:25]
	v_fma_f64 v[153:154], v[92:93], s[20:21], v[149:150]
	v_add_f64 v[82:83], v[151:152], v[82:83]
	v_fma_f64 v[72:73], v[100:101], s[42:43], v[72:73]
	v_add_f64 v[66:67], v[2:3], v[66:67]
	;; [unrolled: 8-line block ×3, first 2 shown]
	v_fma_f64 v[68:69], v[80:81], s[42:43], v[68:69]
	v_mul_f64 v[153:154], v[108:109], s[4:5]
	v_fma_f64 v[159:160], v[102:103], s[24:25], v[151:152]
	v_add_f64 v[58:59], v[155:156], v[58:59]
	v_add_f64 v[60:61], v[60:61], v[52:53]
	v_fma_f64 v[72:73], v[80:81], s[40:41], v[84:85]
	v_add_f64 v[82:83], v[157:158], v[82:83]
	v_fma_f64 v[149:150], v[92:93], s[34:35], v[149:150]
	v_add_f64 v[66:67], v[86:87], v[66:67]
	v_add_f64 v[52:53], v[56:57], v[70:71]
	v_fma_f64 v[70:71], v[104:105], s[10:11], v[153:154]
	v_add_f64 v[86:87], v[159:160], v[58:59]
	v_add_f64 v[58:59], v[68:69], v[62:63]
	v_add_f64 v[56:57], v[64:65], v[60:61]
	v_add_f64 v[62:63], v[72:73], v[82:83]
	v_fma_f64 v[64:65], v[90:91], s[46:47], v[138:139]
	v_mul_f64 v[68:69], v[134:135], s[10:11]
	v_fma_f64 v[72:73], v[112:113], s[28:29], -v[76:77]
	v_add_f64 v[66:67], v[149:150], v[66:67]
	v_mul_f64 v[76:77], v[118:119], s[4:5]
	v_add_f64 v[60:61], v[70:71], v[86:87]
	v_fma_f64 v[70:71], v[80:81], s[4:5], v[84:85]
	v_fma_f64 v[78:79], v[110:111], s[6:7], -v[78:79]
	v_mul_f64 v[82:83], v[132:133], s[28:29]
	v_fma_f64 v[84:85], v[106:107], s[40:41], v[68:69]
	v_add_f64 v[72:73], v[0:1], v[72:73]
	v_add_f64 v[64:65], v[64:65], v[66:67]
	v_fma_f64 v[66:67], v[98:99], s[18:19], -v[74:75]
	v_mul_f64 v[74:75], v[122:123], s[36:37]
	v_fma_f64 v[86:87], v[112:113], s[10:11], v[76:77]
	v_mul_f64 v[138:139], v[130:131], s[24:25]
	v_fma_f64 v[149:150], v[100:101], s[14:15], v[82:83]
	v_add_f64 v[84:85], v[2:3], v[84:85]
	v_add_f64 v[72:73], v[78:79], v[72:73]
	v_fma_f64 v[78:79], v[94:95], s[22:23], -v[136:137]
	v_mul_f64 v[136:137], v[114:115], s[46:47]
	v_fma_f64 v[155:156], v[110:111], s[28:29], v[74:75]
	v_add_f64 v[86:87], v[0:1], v[86:87]
	v_mul_f64 v[157:158], v[128:129], s[6:7]
	v_fma_f64 v[159:160], v[96:97], s[30:31], v[138:139]
	v_add_f64 v[84:85], v[149:150], v[84:85]
	v_add_f64 v[66:67], v[66:67], v[72:73]
	v_fma_f64 v[72:73], v[102:103], s[24:25], -v[151:152]
	v_mul_f64 v[149:150], v[124:125], s[16:17]
	v_fma_f64 v[151:152], v[98:99], s[24:25], v[136:137]
	v_add_f64 v[86:87], v[155:156], v[86:87]
	v_mul_f64 v[155:156], v[126:127], s[22:23]
	v_fma_f64 v[161:162], v[92:93], s[42:43], v[157:158]
	v_add_f64 v[84:85], v[159:160], v[84:85]
	v_add_f64 v[66:67], v[78:79], v[66:67]
	v_mul_f64 v[78:79], v[120:121], s[34:35]
	v_fma_f64 v[68:69], v[106:107], s[4:5], v[68:69]
	v_fma_f64 v[159:160], v[94:95], s[6:7], v[149:150]
	v_add_f64 v[86:87], v[151:152], v[86:87]
	v_mul_f64 v[151:152], v[116:117], s[18:19]
	v_fma_f64 v[163:164], v[90:91], s[20:21], v[155:156]
	v_add_f64 v[84:85], v[161:162], v[84:85]
	v_mul_f64 v[161:162], v[108:109], s[44:45]
	v_fma_f64 v[82:83], v[100:101], s[36:37], v[82:83]
	v_add_f64 v[68:69], v[2:3], v[68:69]
	v_fma_f64 v[165:166], v[102:103], s[22:23], v[78:79]
	v_add_f64 v[86:87], v[159:160], v[86:87]
	v_fma_f64 v[153:154], v[104:105], s[10:11], -v[153:154]
	v_add_f64 v[66:67], v[72:73], v[66:67]
	v_fma_f64 v[72:73], v[80:81], s[26:27], v[151:152]
	v_add_f64 v[84:85], v[163:164], v[84:85]
	v_fma_f64 v[138:139], v[96:97], s[46:47], v[138:139]
	;; [unrolled: 2-line block ×3, first 2 shown]
	v_add_f64 v[86:87], v[165:166], v[86:87]
	v_fma_f64 v[76:77], v[112:113], s[10:11], -v[76:77]
	v_add_f64 v[68:69], v[153:154], v[66:67]
	v_mul_f64 v[153:154], v[134:135], s[6:7]
	v_add_f64 v[70:71], v[70:71], v[64:65]
	v_fma_f64 v[157:158], v[92:93], s[16:17], v[157:158]
	v_add_f64 v[82:83], v[138:139], v[82:83]
	v_add_f64 v[66:67], v[72:73], v[84:85]
	;; [unrolled: 1-line block ×3, first 2 shown]
	v_fma_f64 v[72:73], v[90:91], s[34:35], v[155:156]
	v_mul_f64 v[84:85], v[132:133], s[22:23]
	v_fma_f64 v[86:87], v[106:107], s[42:43], v[153:154]
	v_fma_f64 v[74:75], v[110:111], s[28:29], -v[74:75]
	v_add_f64 v[76:77], v[0:1], v[76:77]
	v_mul_f64 v[155:156], v[118:119], s[16:17]
	v_add_f64 v[82:83], v[157:158], v[82:83]
	v_fma_f64 v[138:139], v[80:81], s[44:45], v[151:152]
	v_mul_f64 v[151:152], v[130:131], s[10:11]
	v_fma_f64 v[157:158], v[100:101], s[34:35], v[84:85]
	v_add_f64 v[86:87], v[2:3], v[86:87]
	v_fma_f64 v[136:137], v[98:99], s[24:25], -v[136:137]
	v_add_f64 v[74:75], v[74:75], v[76:77]
	v_mul_f64 v[159:160], v[122:123], s[20:21]
	v_fma_f64 v[76:77], v[112:113], s[6:7], v[155:156]
	v_add_f64 v[72:73], v[72:73], v[82:83]
	v_mul_f64 v[82:83], v[128:129], s[24:25]
	v_fma_f64 v[163:164], v[96:97], s[4:5], v[151:152]
	v_add_f64 v[86:87], v[157:158], v[86:87]
	v_fma_f64 v[149:150], v[94:95], s[6:7], -v[149:150]
	v_add_f64 v[74:75], v[136:137], v[74:75]
	v_mul_f64 v[157:158], v[114:115], s[40:41]
	v_fma_f64 v[165:166], v[110:111], s[22:23], v[159:160]
	v_add_f64 v[76:77], v[0:1], v[76:77]
	v_fma_f64 v[167:168], v[92:93], s[30:31], v[82:83]
	v_fma_f64 v[78:79], v[102:103], s[22:23], -v[78:79]
	v_add_f64 v[86:87], v[163:164], v[86:87]
	v_mul_f64 v[163:164], v[124:125], s[46:47]
	v_add_f64 v[74:75], v[149:150], v[74:75]
	v_fma_f64 v[169:170], v[98:99], s[10:11], v[157:158]
	v_mul_f64 v[136:137], v[126:127], s[18:19]
	v_add_f64 v[76:77], v[165:166], v[76:77]
	v_fma_f64 v[161:162], v[104:105], s[18:19], -v[161:162]
	v_fma_f64 v[153:154], v[106:107], s[16:17], v[153:154]
	v_add_f64 v[86:87], v[167:168], v[86:87]
	v_mul_f64 v[167:168], v[120:121], s[26:27]
	v_add_f64 v[74:75], v[78:79], v[74:75]
	v_fma_f64 v[171:172], v[94:95], s[24:25], v[163:164]
	v_mul_f64 v[149:150], v[116:117], s[28:29]
	v_add_f64 v[76:77], v[169:170], v[76:77]
	v_fma_f64 v[165:166], v[90:91], s[44:45], v[136:137]
	v_add_f64 v[78:79], v[138:139], v[72:73]
	v_fma_f64 v[84:85], v[100:101], s[20:21], v[84:85]
	v_fma_f64 v[72:73], v[102:103], s[18:19], v[167:168]
	v_add_f64 v[138:139], v[2:3], v[153:154]
	v_fma_f64 v[151:152], v[96:97], s[40:41], v[151:152]
	v_fma_f64 v[169:170], v[80:81], s[36:37], v[149:150]
	v_add_f64 v[153:154], v[171:172], v[76:77]
	v_add_f64 v[76:77], v[161:162], v[74:75]
	v_mul_f64 v[161:162], v[134:135], s[18:19]
	v_add_f64 v[86:87], v[165:166], v[86:87]
	v_fma_f64 v[155:156], v[112:113], s[6:7], -v[155:156]
	v_add_f64 v[84:85], v[84:85], v[138:139]
	v_fma_f64 v[138:139], v[80:81], s[14:15], v[149:150]
	v_mul_f64 v[149:150], v[132:133], s[10:11]
	v_add_f64 v[72:73], v[72:73], v[153:154]
	v_fma_f64 v[82:83], v[92:93], s[46:47], v[82:83]
	v_fma_f64 v[153:154], v[106:107], s[44:45], v[161:162]
	v_add_f64 v[74:75], v[169:170], v[86:87]
	v_fma_f64 v[159:160], v[110:111], s[22:23], -v[159:160]
	v_add_f64 v[155:156], v[0:1], v[155:156]
	v_add_f64 v[84:85], v[151:152], v[84:85]
	v_mul_f64 v[151:152], v[118:119], s[26:27]
	v_mul_f64 v[169:170], v[130:131], s[22:23]
	v_fma_f64 v[171:172], v[100:101], s[40:41], v[149:150]
	v_add_f64 v[153:154], v[2:3], v[153:154]
	v_add_f64 v[46:47], v[2:3], v[46:47]
	v_add_f64 v[44:45], v[0:1], v[44:45]
	v_fma_f64 v[157:158], v[98:99], s[10:11], -v[157:158]
	v_add_f64 v[155:156], v[159:160], v[155:156]
	v_add_f64 v[82:83], v[82:83], v[84:85]
	v_mul_f64 v[159:160], v[122:123], s[4:5]
	v_fma_f64 v[84:85], v[112:113], s[18:19], v[151:152]
	v_mul_f64 v[173:174], v[128:129], s[28:29]
	v_fma_f64 v[175:176], v[96:97], s[34:35], v[169:170]
	v_add_f64 v[153:154], v[171:172], v[153:154]
	v_add_f64 v[46:47], v[46:47], v[50:51]
	;; [unrolled: 1-line block ×3, first 2 shown]
	v_fma_f64 v[163:164], v[94:95], s[24:25], -v[163:164]
	v_add_f64 v[155:156], v[157:158], v[155:156]
	v_fma_f64 v[171:172], v[110:111], s[10:11], v[159:160]
	v_add_f64 v[84:85], v[0:1], v[84:85]
	v_mul_f64 v[177:178], v[126:127], s[6:7]
	v_fma_f64 v[179:180], v[92:93], s[14:15], v[173:174]
	v_add_f64 v[153:154], v[175:176], v[153:154]
	v_add_f64 v[42:43], v[46:47], v[42:43]
	;; [unrolled: 1-line block ×3, first 2 shown]
	v_mul_f64 v[165:166], v[108:109], s[14:15]
	v_fma_f64 v[136:137], v[90:91], s[26:27], v[136:137]
	v_fma_f64 v[167:168], v[102:103], s[18:19], -v[167:168]
	v_add_f64 v[155:156], v[163:164], v[155:156]
	v_add_f64 v[84:85], v[171:172], v[84:85]
	v_mul_f64 v[171:172], v[116:117], s[24:25]
	v_fma_f64 v[181:182], v[90:91], s[16:17], v[177:178]
	v_add_f64 v[153:154], v[179:180], v[153:154]
	v_add_f64 v[38:39], v[42:43], v[38:39]
	;; [unrolled: 1-line block ×3, first 2 shown]
	v_fma_f64 v[86:87], v[104:105], s[28:29], v[165:166]
	v_mul_f64 v[157:158], v[114:115], s[20:21]
	v_add_f64 v[82:83], v[136:137], v[82:83]
	v_add_f64 v[155:156], v[167:168], v[155:156]
	v_fma_f64 v[167:168], v[80:81], s[30:31], v[171:172]
	v_add_f64 v[153:154], v[181:182], v[153:154]
	v_fma_f64 v[161:162], v[106:107], s[26:27], v[161:162]
	v_add_f64 v[34:35], v[38:39], v[34:35]
	v_add_f64 v[32:33], v[40:41], v[32:33]
	v_fma_f64 v[175:176], v[98:99], s[22:23], v[157:158]
	v_add_f64 v[72:73], v[86:87], v[72:73]
	;; [unrolled: 3-line block ×3, first 2 shown]
	v_add_f64 v[153:154], v[2:3], v[161:162]
	v_fma_f64 v[151:152], v[112:113], s[18:19], -v[151:152]
	v_mul_f64 v[134:135], v[134:135], s[24:25]
	v_mul_f64 v[38:39], v[118:119], s[30:31]
	v_add_f64 v[30:31], v[34:35], v[30:31]
	v_add_f64 v[28:29], v[32:33], v[28:29]
	v_fma_f64 v[136:137], v[104:105], s[28:29], -v[165:166]
	v_mul_f64 v[165:166], v[120:121], s[42:43]
	v_add_f64 v[84:85], v[175:176], v[84:85]
	v_mul_f64 v[175:176], v[108:109], s[46:47]
	v_fma_f64 v[167:168], v[96:97], s[20:21], v[169:170]
	v_add_f64 v[149:150], v[149:150], v[153:154]
	v_fma_f64 v[153:154], v[110:111], s[10:11], -v[159:160]
	v_add_f64 v[151:152], v[0:1], v[151:152]
	v_mul_f64 v[132:133], v[132:133], s[18:19]
	v_fma_f64 v[169:170], v[106:107], s[46:47], v[134:135]
	v_mul_f64 v[40:41], v[108:109], s[20:21]
	v_mul_f64 v[108:109], v[120:121], s[14:15]
	v_fma_f64 v[106:107], v[106:107], s[30:31], v[134:135]
	v_mul_f64 v[120:121], v[122:123], s[26:27]
	v_fma_f64 v[32:33], v[112:113], s[24:25], -v[38:39]
	v_fma_f64 v[38:39], v[112:113], s[24:25], v[38:39]
	v_add_f64 v[26:27], v[30:31], v[26:27]
	v_add_f64 v[24:25], v[28:29], v[24:25]
	v_mul_f64 v[163:164], v[124:125], s[36:37]
	v_fma_f64 v[159:160], v[92:93], s[36:37], v[173:174]
	v_add_f64 v[149:150], v[167:168], v[149:150]
	v_fma_f64 v[157:158], v[98:99], s[22:23], -v[157:158]
	v_add_f64 v[151:152], v[153:154], v[151:152]
	v_mul_f64 v[130:131], v[130:131], s[6:7]
	v_fma_f64 v[153:154], v[100:101], s[44:45], v[132:133]
	v_add_f64 v[167:168], v[2:3], v[169:170]
	v_mul_f64 v[34:35], v[114:115], s[16:17]
	v_fma_f64 v[100:101], v[100:101], s[26:27], v[132:133]
	v_add_f64 v[2:3], v[2:3], v[106:107]
	v_fma_f64 v[106:107], v[110:111], s[18:19], -v[120:121]
	v_add_f64 v[28:29], v[0:1], v[32:33]
	v_fma_f64 v[30:31], v[110:111], s[18:19], v[120:121]
	v_add_f64 v[0:1], v[0:1], v[38:39]
	v_add_f64 v[22:23], v[26:27], v[22:23]
	;; [unrolled: 1-line block ×3, first 2 shown]
	v_fma_f64 v[179:180], v[94:95], s[28:29], v[163:164]
	v_fma_f64 v[161:162], v[90:91], s[42:43], v[177:178]
	v_add_f64 v[48:49], v[159:160], v[149:150]
	v_fma_f64 v[50:51], v[94:95], s[28:29], -v[163:164]
	v_add_f64 v[149:150], v[157:158], v[151:152]
	v_mul_f64 v[128:129], v[128:129], s[10:11]
	v_mul_f64 v[118:119], v[124:125], s[4:5]
	v_fma_f64 v[32:33], v[96:97], s[16:17], v[130:131]
	v_add_f64 v[2:3], v[100:101], v[2:3]
	v_fma_f64 v[38:39], v[98:99], s[6:7], -v[34:35]
	v_add_f64 v[24:25], v[106:107], v[28:29]
	v_fma_f64 v[151:152], v[96:97], s[42:43], v[130:131]
	v_add_f64 v[153:154], v[153:154], v[167:168]
	v_fma_f64 v[26:27], v[98:99], s[6:7], v[34:35]
	v_add_f64 v[0:1], v[30:31], v[0:1]
	v_add_f64 v[6:7], v[22:23], v[6:7]
	;; [unrolled: 1-line block ×5, first 2 shown]
	v_fma_f64 v[155:156], v[80:81], s[46:47], v[171:172]
	v_add_f64 v[44:45], v[161:162], v[48:49]
	v_fma_f64 v[46:47], v[102:103], s[6:7], -v[165:166]
	v_add_f64 v[48:49], v[50:51], v[149:150]
	v_mul_f64 v[50:51], v[126:127], s[28:29]
	v_fma_f64 v[28:29], v[92:93], s[4:5], v[128:129]
	v_add_f64 v[2:3], v[32:33], v[2:3]
	v_fma_f64 v[30:31], v[94:95], s[10:11], -v[118:119]
	v_add_f64 v[20:21], v[38:39], v[24:25]
	v_fma_f64 v[126:127], v[92:93], s[40:41], v[128:129]
	v_add_f64 v[149:150], v[151:152], v[153:154]
	v_fma_f64 v[22:23], v[94:95], s[10:11], v[118:119]
	v_add_f64 v[0:1], v[26:27], v[0:1]
	v_add_f64 v[6:7], v[6:7], v[10:11]
	;; [unrolled: 1-line block ×5, first 2 shown]
	v_mul_f64 v[46:47], v[116:117], s[22:23]
	v_fma_f64 v[24:25], v[90:91], s[14:15], v[50:51]
	v_add_f64 v[2:3], v[28:29], v[2:3]
	v_fma_f64 v[26:27], v[102:103], s[28:29], -v[108:109]
	v_add_f64 v[8:9], v[30:31], v[20:21]
	v_fma_f64 v[181:182], v[102:103], s[6:7], v[165:166]
	v_fma_f64 v[48:49], v[90:91], s[36:37], v[50:51]
	v_add_f64 v[116:117], v[126:127], v[149:150]
	v_fma_f64 v[10:11], v[102:103], s[28:29], v[108:109]
	v_add_f64 v[0:1], v[22:23], v[0:1]
	v_add_f64 v[6:7], v[6:7], v[18:19]
	;; [unrolled: 1-line block ×3, first 2 shown]
	v_fma_f64 v[20:21], v[80:81], s[20:21], v[46:47]
	v_add_f64 v[2:3], v[24:25], v[2:3]
	v_fma_f64 v[22:23], v[104:105], s[22:23], -v[40:41]
	v_add_f64 v[8:9], v[26:27], v[8:9]
	v_fma_f64 v[42:43], v[104:105], s[24:25], -v[175:176]
	v_fma_f64 v[136:137], v[104:105], s[24:25], v[175:176]
	v_add_f64 v[138:139], v[181:182], v[179:180]
	v_fma_f64 v[16:17], v[80:81], s[34:35], v[46:47]
	v_add_f64 v[18:19], v[48:49], v[116:117]
	;; [unrolled: 2-line block ×3, first 2 shown]
	v_add_f64 v[6:7], v[6:7], v[14:15]
	v_add_f64 v[4:5], v[4:5], v[12:13]
	;; [unrolled: 1-line block ×5, first 2 shown]
	v_mul_i32_i24_e32 v12, 0xd0, v148
	v_add3_u32 v12, 0, v12, v147
	v_add_f64 v[80:81], v[136:137], v[138:139]
	v_add_f64 v[10:11], v[16:17], v[18:19]
	v_add_f64 v[8:9], v[24:25], v[26:27]
	ds_write_b128 v12, v[4:7]
	ds_write_b128 v12, v[0:3] offset:16
	ds_write_b128 v12, v[34:37] offset:32
	;; [unrolled: 1-line block ×12, first 2 shown]
.LBB0_15:
	s_or_b64 exec, exec, s[38:39]
	v_lshlrev_b32_e32 v0, 2, v140
	v_mov_b32_e32 v1, 0
	v_lshlrev_b64 v[4:5], 4, v[0:1]
	v_mov_b32_e32 v3, s9
	v_add_co_u32_e64 v20, s[0:1], s8, v4
	v_addc_co_u32_e64 v21, s[0:1], v3, v5, s[0:1]
	s_waitcnt lgkmcnt(0)
	; wave barrier
	s_waitcnt lgkmcnt(0)
	global_load_dwordx4 v[4:7], v[20:21], off
	global_load_dwordx4 v[8:11], v[20:21], off offset:16
	global_load_dwordx4 v[12:15], v[20:21], off offset:32
	;; [unrolled: 1-line block ×3, first 2 shown]
	s_movk_i32 s0, 0x4f
	v_mul_lo_u16_sdwa v0, v144, s0 dst_sel:DWORD dst_unused:UNUSED_PAD src0_sel:BYTE_0 src1_sel:DWORD
	v_lshrrev_b16_e32 v0, 10, v0
	v_mul_lo_u16_e32 v0, 13, v0
	v_sub_u16_e32 v0, v144, v0
	v_mov_b32_e32 v2, 6
	v_lshlrev_b32_sdwa v2, v2, v0 dst_sel:DWORD dst_unused:UNUSED_PAD src0_sel:DWORD src1_sel:BYTE_0
	global_load_dwordx4 v[20:23], v2, s[8:9]
	global_load_dwordx4 v[24:27], v2, s[8:9] offset:16
	global_load_dwordx4 v[28:31], v2, s[8:9] offset:32
	;; [unrolled: 1-line block ×3, first 2 shown]
	ds_read_b128 v[36:39], v146 offset:624
	ds_read_b128 v[40:43], v146 offset:832
	;; [unrolled: 1-line block ×4, first 2 shown]
	ds_read_b128 v[52:55], v145
	ds_read_b128 v[56:59], v146 offset:416
	ds_read_b128 v[60:63], v146 offset:1248
	;; [unrolled: 1-line block ×9, first 2 shown]
	s_mov_b32 s4, 0x134454ff
	s_mov_b32 s5, 0x3fee6f0e
	;; [unrolled: 1-line block ×8, first 2 shown]
	v_lshlrev_b32_e32 v2, 4, v148
	v_add3_u32 v2, 0, v2, v147
	ds_read_b128 v[94:97], v2
	s_mov_b32 s14, 0x372fe950
	s_mov_b32 s15, 0x3fd3c6ef
	s_waitcnt lgkmcnt(0)
	; wave barrier
	s_waitcnt vmcnt(7) lgkmcnt(0)
	v_mul_f64 v[98:99], v[38:39], v[6:7]
	s_waitcnt vmcnt(6)
	v_mul_f64 v[102:103], v[62:63], v[10:11]
	s_waitcnt vmcnt(5)
	;; [unrolled: 2-line block ×3, first 2 shown]
	v_mul_f64 v[110:111], v[78:79], v[18:19]
	v_mul_f64 v[100:101], v[36:37], v[6:7]
	;; [unrolled: 1-line block ×9, first 2 shown]
	v_fma_f64 v[36:37], v[36:37], v[4:5], -v[98:99]
	v_fma_f64 v[60:61], v[60:61], v[8:9], -v[102:103]
	;; [unrolled: 1-line block ×4, first 2 shown]
	v_mul_f64 v[118:119], v[50:51], v[14:15]
	v_mul_f64 v[14:15], v[48:49], v[14:15]
	v_fma_f64 v[38:39], v[38:39], v[4:5], v[100:101]
	v_fma_f64 v[62:63], v[62:63], v[8:9], v[104:105]
	;; [unrolled: 1-line block ×5, first 2 shown]
	v_fma_f64 v[68:69], v[68:69], v[8:9], -v[116:117]
	v_fma_f64 v[70:71], v[70:71], v[8:9], v[10:11]
	v_add_f64 v[6:7], v[60:61], v[44:45]
	v_add_f64 v[8:9], v[36:37], v[76:77]
	v_mul_f64 v[120:121], v[86:87], v[18:19]
	v_mul_f64 v[18:19], v[84:85], v[18:19]
	s_waitcnt vmcnt(3)
	v_mul_f64 v[122:123], v[66:67], v[22:23]
	v_mul_f64 v[22:23], v[64:65], v[22:23]
	s_waitcnt vmcnt(2)
	v_mul_f64 v[124:125], v[74:75], v[26:27]
	v_mul_f64 v[26:27], v[72:73], v[26:27]
	s_waitcnt vmcnt(1)
	v_mul_f64 v[126:127], v[82:83], v[30:31]
	v_mul_f64 v[30:31], v[80:81], v[30:31]
	v_fma_f64 v[48:49], v[48:49], v[12:13], -v[118:119]
	v_fma_f64 v[50:51], v[50:51], v[12:13], v[14:15]
	v_add_f64 v[10:11], v[38:39], -v[78:79]
	v_add_f64 v[12:13], v[62:63], -v[46:47]
	v_fma_f64 v[6:7], v[6:7], -0.5, v[52:53]
	v_fma_f64 v[8:9], v[8:9], -0.5, v[52:53]
	v_fma_f64 v[84:85], v[84:85], v[16:17], -v[120:121]
	v_fma_f64 v[86:87], v[86:87], v[16:17], v[18:19]
	v_fma_f64 v[66:67], v[66:67], v[20:21], v[22:23]
	v_add_f64 v[14:15], v[36:37], -v[60:61]
	v_add_f64 v[16:17], v[76:77], -v[44:45]
	v_add_f64 v[22:23], v[54:55], v[38:39]
	s_waitcnt vmcnt(0)
	v_mul_f64 v[128:129], v[92:93], v[34:35]
	v_mul_f64 v[34:35], v[90:91], v[34:35]
	v_fma_f64 v[64:65], v[64:65], v[20:21], -v[122:123]
	v_fma_f64 v[72:73], v[72:73], v[24:25], -v[124:125]
	v_fma_f64 v[74:75], v[74:75], v[24:25], v[26:27]
	v_fma_f64 v[80:81], v[80:81], v[28:29], -v[126:127]
	v_fma_f64 v[82:83], v[82:83], v[28:29], v[30:31]
	v_add_f64 v[18:19], v[60:61], -v[36:37]
	v_add_f64 v[20:21], v[44:45], -v[76:77]
	v_add_f64 v[24:25], v[62:63], v[46:47]
	v_fma_f64 v[28:29], v[10:11], s[4:5], v[6:7]
	v_fma_f64 v[30:31], v[12:13], s[10:11], v[8:9]
	;; [unrolled: 1-line block ×4, first 2 shown]
	v_add_f64 v[14:15], v[14:15], v[16:17]
	v_add_f64 v[16:17], v[22:23], v[62:63]
	v_fma_f64 v[92:93], v[92:93], v[32:33], v[34:35]
	v_add_f64 v[26:27], v[36:37], -v[76:77]
	v_fma_f64 v[22:23], v[24:25], -0.5, v[54:55]
	v_fma_f64 v[24:25], v[12:13], s[0:1], v[28:29]
	v_fma_f64 v[28:29], v[10:11], s[0:1], v[30:31]
	v_add_f64 v[18:19], v[18:19], v[20:21]
	v_fma_f64 v[10:11], v[10:11], s[6:7], v[8:9]
	v_add_f64 v[34:35], v[38:39], v[78:79]
	v_fma_f64 v[40:41], v[40:41], v[4:5], -v[114:115]
	v_fma_f64 v[6:7], v[12:13], s[6:7], v[6:7]
	v_add_f64 v[30:31], v[16:17], v[46:47]
	v_fma_f64 v[90:91], v[90:91], v[32:33], -v[128:129]
	v_add_f64 v[4:5], v[52:53], v[36:37]
	v_fma_f64 v[32:33], v[26:27], s[10:11], v[22:23]
	v_add_f64 v[36:37], v[60:61], -v[44:45]
	v_fma_f64 v[20:21], v[18:19], s[14:15], v[10:11]
	v_fma_f64 v[10:11], v[34:35], -0.5, v[54:55]
	v_fma_f64 v[8:9], v[14:15], s[14:15], v[24:25]
	v_fma_f64 v[12:13], v[14:15], s[14:15], v[6:7]
	;; [unrolled: 1-line block ×3, first 2 shown]
	v_add_f64 v[6:7], v[30:31], v[78:79]
	v_add_f64 v[18:19], v[38:39], -v[62:63]
	v_add_f64 v[24:25], v[78:79], -v[46:47]
	v_add_f64 v[28:29], v[94:95], v[40:41]
	v_add_f64 v[30:31], v[68:69], v[48:49]
	v_fma_f64 v[14:15], v[36:37], s[6:7], v[32:33]
	v_fma_f64 v[22:23], v[26:27], s[4:5], v[22:23]
	;; [unrolled: 1-line block ×3, first 2 shown]
	v_add_f64 v[34:35], v[62:63], -v[38:39]
	v_add_f64 v[38:39], v[46:47], -v[78:79]
	v_fma_f64 v[10:11], v[36:37], s[10:11], v[10:11]
	v_add_f64 v[4:5], v[4:5], v[60:61]
	v_add_f64 v[18:19], v[18:19], v[24:25]
	;; [unrolled: 1-line block ×3, first 2 shown]
	v_fma_f64 v[28:29], v[30:31], -0.5, v[94:95]
	v_add_f64 v[30:31], v[42:43], -v[86:87]
	v_fma_f64 v[22:23], v[36:37], s[0:1], v[22:23]
	v_fma_f64 v[32:33], v[26:27], s[6:7], v[32:33]
	v_add_f64 v[34:35], v[34:35], v[38:39]
	v_fma_f64 v[26:27], v[26:27], s[0:1], v[10:11]
	v_add_f64 v[4:5], v[4:5], v[44:45]
	v_add_f64 v[36:37], v[40:41], v[84:85]
	v_add_f64 v[44:45], v[70:71], -v[50:51]
	v_fma_f64 v[38:39], v[30:31], s[4:5], v[28:29]
	v_fma_f64 v[10:11], v[18:19], s[14:15], v[14:15]
	;; [unrolled: 1-line block ×5, first 2 shown]
	v_add_f64 v[32:33], v[40:41], -v[68:69]
	v_add_f64 v[34:35], v[84:85], -v[48:49]
	v_fma_f64 v[28:29], v[30:31], s[10:11], v[28:29]
	v_fma_f64 v[26:27], v[36:37], -0.5, v[94:95]
	v_fma_f64 v[36:37], v[44:45], s[0:1], v[38:39]
	v_add_f64 v[38:39], v[96:97], v[42:43]
	v_add_f64 v[46:47], v[70:71], v[50:51]
	v_add_f64 v[54:55], v[68:69], -v[40:41]
	v_add_f64 v[60:61], v[48:49], -v[84:85]
	v_add_f64 v[32:33], v[32:33], v[34:35]
	v_fma_f64 v[34:35], v[44:45], s[6:7], v[28:29]
	v_fma_f64 v[52:53], v[44:45], s[10:11], v[26:27]
	;; [unrolled: 1-line block ×3, first 2 shown]
	v_add_f64 v[38:39], v[38:39], v[70:71]
	v_fma_f64 v[44:45], v[46:47], -0.5, v[96:97]
	v_add_f64 v[46:47], v[40:41], -v[84:85]
	v_add_f64 v[24:25], v[24:25], v[48:49]
	v_fma_f64 v[28:29], v[32:33], s[14:15], v[36:37]
	v_fma_f64 v[32:33], v[32:33], s[14:15], v[34:35]
	v_add_f64 v[34:35], v[42:43], v[86:87]
	v_fma_f64 v[40:41], v[30:31], s[0:1], v[52:53]
	v_add_f64 v[52:53], v[54:55], v[60:61]
	;; [unrolled: 2-line block ×3, first 2 shown]
	v_fma_f64 v[38:39], v[46:47], s[10:11], v[44:45]
	v_add_f64 v[48:49], v[68:69], -v[48:49]
	v_add_f64 v[54:55], v[72:73], v[80:81]
	v_add_f64 v[60:61], v[42:43], -v[70:71]
	v_add_f64 v[62:63], v[86:87], -v[50:51]
	v_fma_f64 v[34:35], v[34:35], -0.5, v[96:97]
	v_fma_f64 v[36:37], v[52:53], s[14:15], v[40:41]
	v_fma_f64 v[40:41], v[52:53], s[14:15], v[26:27]
	v_add_f64 v[26:27], v[30:31], v[86:87]
	v_fma_f64 v[30:31], v[48:49], s[6:7], v[38:39]
	v_add_f64 v[38:39], v[56:57], v[64:65]
	v_fma_f64 v[44:45], v[46:47], s[4:5], v[44:45]
	v_fma_f64 v[52:53], v[54:55], -0.5, v[56:57]
	v_add_f64 v[54:55], v[66:67], -v[92:93]
	v_add_f64 v[60:61], v[60:61], v[62:63]
	v_fma_f64 v[62:63], v[48:49], s[4:5], v[34:35]
	v_add_f64 v[42:43], v[70:71], -v[42:43]
	v_add_f64 v[50:51], v[50:51], -v[86:87]
	v_fma_f64 v[34:35], v[48:49], s[10:11], v[34:35]
	v_add_f64 v[38:39], v[38:39], v[72:73]
	v_fma_f64 v[44:45], v[48:49], s[0:1], v[44:45]
	v_add_f64 v[48:49], v[64:65], v[90:91]
	v_add_f64 v[4:5], v[4:5], v[76:77]
	v_fma_f64 v[68:69], v[54:55], s[4:5], v[52:53]
	v_add_f64 v[70:71], v[74:75], -v[82:83]
	v_add_f64 v[76:77], v[64:65], -v[72:73]
	;; [unrolled: 1-line block ×3, first 2 shown]
	v_fma_f64 v[62:63], v[46:47], s[6:7], v[62:63]
	v_add_f64 v[42:43], v[42:43], v[50:51]
	v_fma_f64 v[46:47], v[46:47], s[0:1], v[34:35]
	v_add_f64 v[50:51], v[38:39], v[80:81]
	v_fma_f64 v[56:57], v[48:49], -0.5, v[56:57]
	v_fma_f64 v[68:69], v[70:71], s[0:1], v[68:69]
	v_fma_f64 v[34:35], v[60:61], s[14:15], v[44:45]
	v_add_f64 v[76:77], v[76:77], v[78:79]
	v_add_f64 v[78:79], v[58:59], v[66:67]
	v_fma_f64 v[38:39], v[42:43], s[14:15], v[62:63]
	v_fma_f64 v[42:43], v[42:43], s[14:15], v[46:47]
	v_add_f64 v[46:47], v[74:75], v[82:83]
	v_add_f64 v[44:45], v[50:51], v[90:91]
	v_fma_f64 v[50:51], v[54:55], s[10:11], v[52:53]
	v_fma_f64 v[52:53], v[70:71], s[10:11], v[56:57]
	v_add_f64 v[62:63], v[66:67], v[92:93]
	v_fma_f64 v[30:31], v[60:61], s[14:15], v[30:31]
	v_fma_f64 v[48:49], v[76:77], s[14:15], v[68:69]
	v_add_f64 v[60:61], v[72:73], -v[64:65]
	v_add_f64 v[68:69], v[80:81], -v[90:91]
	v_fma_f64 v[46:47], v[46:47], -0.5, v[58:59]
	v_add_f64 v[64:65], v[64:65], -v[90:91]
	v_add_f64 v[24:25], v[24:25], v[84:85]
	v_fma_f64 v[84:85], v[54:55], s[0:1], v[52:53]
	v_add_f64 v[52:53], v[72:73], -v[80:81]
	v_fma_f64 v[58:59], v[62:63], -0.5, v[58:59]
	v_add_f64 v[62:63], v[78:79], v[74:75]
	v_fma_f64 v[50:51], v[70:71], s[6:7], v[50:51]
	v_add_f64 v[60:61], v[60:61], v[68:69]
	v_fma_f64 v[56:57], v[70:71], s[4:5], v[56:57]
	v_fma_f64 v[68:69], v[64:65], s[10:11], v[46:47]
	v_add_f64 v[70:71], v[66:67], -v[74:75]
	v_add_f64 v[72:73], v[92:93], -v[82:83]
	v_fma_f64 v[78:79], v[52:53], s[4:5], v[58:59]
	v_add_f64 v[66:67], v[74:75], -v[66:67]
	v_add_f64 v[74:75], v[82:83], -v[92:93]
	v_fma_f64 v[58:59], v[52:53], s[10:11], v[58:59]
	v_fma_f64 v[46:47], v[64:65], s[4:5], v[46:47]
	v_add_f64 v[62:63], v[62:63], v[82:83]
	v_fma_f64 v[68:69], v[52:53], s[6:7], v[68:69]
	v_add_f64 v[70:71], v[70:71], v[72:73]
	v_fma_f64 v[78:79], v[64:65], s[6:7], v[78:79]
	v_fma_f64 v[54:55], v[54:55], s[6:7], v[56:57]
	v_add_f64 v[66:67], v[66:67], v[74:75]
	v_fma_f64 v[64:65], v[64:65], s[0:1], v[58:59]
	;; [unrolled: 3-line block ×3, first 2 shown]
	v_fma_f64 v[50:51], v[70:71], s[14:15], v[68:69]
	v_fma_f64 v[56:57], v[60:61], s[14:15], v[84:85]
	;; [unrolled: 1-line block ×6, first 2 shown]
	ds_write_b128 v146, v[4:7]
	ds_write_b128 v146, v[8:11] offset:208
	ds_write_b128 v146, v[16:19] offset:416
	ds_write_b128 v146, v[20:23] offset:624
	ds_write_b128 v146, v[12:15] offset:832
	ds_write_b128 v146, v[24:27] offset:1040
	ds_write_b128 v146, v[28:31] offset:1248
	ds_write_b128 v146, v[36:39] offset:1456
	ds_write_b128 v146, v[40:43] offset:1664
	ds_write_b128 v146, v[32:35] offset:1872
	v_mov_b32_e32 v4, 4
	v_lshlrev_b32_sdwa v0, v4, v0 dst_sel:DWORD dst_unused:UNUSED_PAD src0_sel:DWORD src1_sel:BYTE_0
	v_add3_u32 v0, 0, v0, v147
	ds_write_b128 v0, v[44:47] offset:2080
	ds_write_b128 v0, v[48:51] offset:2288
	;; [unrolled: 1-line block ×5, first 2 shown]
	v_lshlrev_b32_e32 v0, 1, v140
	v_lshlrev_b64 v[4:5], 4, v[0:1]
	v_lshlrev_b32_e32 v0, 1, v148
	v_add_co_u32_e64 v8, s[0:1], s8, v4
	v_lshlrev_b64 v[12:13], 4, v[0:1]
	v_addc_co_u32_e64 v9, s[0:1], v3, v5, s[0:1]
	v_add_co_u32_e64 v20, s[0:1], s8, v12
	s_waitcnt lgkmcnt(0)
	; wave barrier
	s_waitcnt lgkmcnt(0)
	global_load_dwordx4 v[4:7], v[8:9], off offset:848
	s_nop 0
	global_load_dwordx4 v[8:11], v[8:9], off offset:832
	v_addc_co_u32_e64 v21, s[0:1], v3, v13, s[0:1]
	global_load_dwordx4 v[12:15], v[20:21], off offset:832
	global_load_dwordx4 v[16:19], v[20:21], off offset:848
	v_lshlrev_b32_e32 v0, 1, v144
	v_lshlrev_b64 v[20:21], 4, v[0:1]
	v_lshlrev_b32_e32 v0, 1, v142
	v_add_co_u32_e64 v28, s[0:1], s8, v20
	v_addc_co_u32_e64 v29, s[0:1], v3, v21, s[0:1]
	global_load_dwordx4 v[20:23], v[28:29], off offset:848
	global_load_dwordx4 v[24:27], v[28:29], off offset:832
	v_lshlrev_b64 v[28:29], 4, v[0:1]
	v_lshlrev_b32_e32 v0, 1, v141
	v_add_co_u32_e64 v36, s[0:1], s8, v28
	v_lshlrev_b64 v[0:1], 4, v[0:1]
	v_addc_co_u32_e64 v37, s[0:1], v3, v29, s[0:1]
	v_add_co_u32_e64 v0, s[0:1], s8, v0
	v_addc_co_u32_e64 v1, s[0:1], v3, v1, s[0:1]
	global_load_dwordx4 v[28:31], v[36:37], off offset:832
	global_load_dwordx4 v[32:35], v[36:37], off offset:848
	s_nop 0
	global_load_dwordx4 v[36:39], v[0:1], off offset:832
	global_load_dwordx4 v[40:43], v[0:1], off offset:848
	ds_read_b128 v[44:47], v146 offset:2080
	ds_read_b128 v[48:51], v2
	ds_read_b128 v[52:55], v146 offset:1040
	ds_read_b128 v[56:59], v146 offset:1248
	ds_read_b128 v[60:63], v145
	ds_read_b128 v[64:67], v146 offset:416
	ds_read_b128 v[68:71], v146 offset:2288
	;; [unrolled: 1-line block ×10, first 2 shown]
	s_mov_b32 s0, 0xe8584caa
	s_mov_b32 s1, 0x3febb67a
	;; [unrolled: 1-line block ×4, first 2 shown]
	s_waitcnt lgkmcnt(0)
	; wave barrier
	s_waitcnt vmcnt(9) lgkmcnt(0)
	v_mul_f64 v[106:107], v[46:47], v[6:7]
	s_waitcnt vmcnt(8)
	v_mul_f64 v[0:1], v[54:55], v[10:11]
	v_mul_f64 v[10:11], v[52:53], v[10:11]
	;; [unrolled: 1-line block ×3, first 2 shown]
	s_waitcnt vmcnt(7)
	v_mul_f64 v[108:109], v[58:59], v[14:15]
	v_mul_f64 v[14:15], v[56:57], v[14:15]
	v_fma_f64 v[44:45], v[44:45], v[4:5], -v[106:107]
	v_fma_f64 v[0:1], v[52:53], v[8:9], -v[0:1]
	v_fma_f64 v[9:10], v[54:55], v[8:9], v[10:11]
	s_waitcnt vmcnt(6)
	v_mul_f64 v[52:53], v[70:71], v[18:19]
	v_fma_f64 v[5:6], v[46:47], v[4:5], v[6:7]
	v_fma_f64 v[46:47], v[56:57], v[12:13], -v[108:109]
	v_mul_f64 v[3:4], v[68:69], v[18:19]
	v_fma_f64 v[13:14], v[58:59], v[12:13], v[14:15]
	s_waitcnt vmcnt(4)
	v_mul_f64 v[7:8], v[78:79], v[26:27]
	v_mul_f64 v[11:12], v[76:77], v[26:27]
	;; [unrolled: 1-line block ×4, first 2 shown]
	v_fma_f64 v[18:19], v[68:69], v[16:17], -v[52:53]
	v_fma_f64 v[54:55], v[70:71], v[16:17], v[3:4]
	s_waitcnt vmcnt(3)
	v_mul_f64 v[52:53], v[82:83], v[30:31]
	v_mul_f64 v[3:4], v[80:81], v[30:31]
	v_fma_f64 v[30:31], v[76:77], v[24:25], -v[7:8]
	v_fma_f64 v[56:57], v[78:79], v[24:25], v[11:12]
	s_waitcnt vmcnt(2)
	v_mul_f64 v[7:8], v[100:101], v[34:35]
	v_fma_f64 v[58:59], v[72:73], v[20:21], -v[26:27]
	v_fma_f64 v[68:69], v[74:75], v[20:21], v[22:23]
	v_mul_f64 v[11:12], v[98:99], v[34:35]
	v_add_f64 v[15:16], v[0:1], v[44:45]
	s_waitcnt vmcnt(0)
	v_mul_f64 v[20:21], v[104:105], v[42:43]
	v_mul_f64 v[22:23], v[102:103], v[42:43]
	v_fma_f64 v[52:53], v[80:81], v[28:29], -v[52:53]
	v_fma_f64 v[70:71], v[82:83], v[28:29], v[3:4]
	v_mul_f64 v[3:4], v[96:97], v[38:39]
	v_fma_f64 v[72:73], v[98:99], v[32:33], -v[7:8]
	v_mul_f64 v[7:8], v[94:95], v[38:39]
	v_fma_f64 v[74:75], v[100:101], v[32:33], v[11:12]
	v_add_f64 v[11:12], v[60:61], v[0:1]
	v_fma_f64 v[15:16], v[15:16], -0.5, v[60:61]
	v_add_f64 v[24:25], v[9:10], -v[5:6]
	v_fma_f64 v[78:79], v[102:103], v[40:41], -v[20:21]
	v_fma_f64 v[80:81], v[104:105], v[40:41], v[22:23]
	v_add_f64 v[20:21], v[9:10], v[5:6]
	v_add_f64 v[22:23], v[46:47], v[18:19]
	v_fma_f64 v[76:77], v[94:95], v[36:37], -v[3:4]
	v_fma_f64 v[60:61], v[96:97], v[36:37], v[7:8]
	v_add_f64 v[3:4], v[11:12], v[44:45]
	v_fma_f64 v[7:8], v[24:25], s[0:1], v[15:16]
	v_add_f64 v[9:10], v[62:63], v[9:10]
	v_add_f64 v[0:1], v[0:1], -v[44:45]
	v_fma_f64 v[20:21], v[20:21], -0.5, v[62:63]
	v_fma_f64 v[11:12], v[24:25], s[4:5], v[15:16]
	v_add_f64 v[15:16], v[48:49], v[46:47]
	v_add_f64 v[24:25], v[13:14], v[54:55]
	v_fma_f64 v[22:23], v[22:23], -0.5, v[48:49]
	v_add_f64 v[26:27], v[13:14], -v[54:55]
	v_add_f64 v[28:29], v[50:51], v[13:14]
	v_add_f64 v[5:6], v[9:10], v[5:6]
	v_fma_f64 v[9:10], v[0:1], s[4:5], v[20:21]
	v_fma_f64 v[13:14], v[0:1], s[0:1], v[20:21]
	v_add_f64 v[15:16], v[15:16], v[18:19]
	v_add_f64 v[0:1], v[30:31], v[58:59]
	v_fma_f64 v[32:33], v[24:25], -0.5, v[50:51]
	v_add_f64 v[34:35], v[46:47], -v[18:19]
	v_fma_f64 v[19:20], v[26:27], s[0:1], v[22:23]
	v_fma_f64 v[23:24], v[26:27], s[4:5], v[22:23]
	v_add_f64 v[17:18], v[28:29], v[54:55]
	v_add_f64 v[27:28], v[56:57], v[68:69]
	;; [unrolled: 1-line block ×3, first 2 shown]
	v_fma_f64 v[0:1], v[0:1], -0.5, v[64:65]
	v_add_f64 v[38:39], v[56:57], -v[68:69]
	v_fma_f64 v[21:22], v[34:35], s[4:5], v[32:33]
	v_add_f64 v[40:41], v[52:53], v[72:73]
	v_fma_f64 v[25:26], v[34:35], s[0:1], v[32:33]
	v_add_f64 v[33:34], v[66:67], v[56:57]
	v_fma_f64 v[42:43], v[27:28], -0.5, v[66:67]
	v_add_f64 v[44:45], v[30:31], -v[58:59]
	v_add_f64 v[46:47], v[84:85], v[52:53]
	v_add_f64 v[27:28], v[36:37], v[58:59]
	v_fma_f64 v[31:32], v[38:39], s[0:1], v[0:1]
	v_fma_f64 v[48:49], v[40:41], -0.5, v[84:85]
	v_add_f64 v[50:51], v[70:71], -v[74:75]
	v_fma_f64 v[35:36], v[38:39], s[4:5], v[0:1]
	v_add_f64 v[29:30], v[33:34], v[68:69]
	v_fma_f64 v[33:34], v[44:45], s[4:5], v[42:43]
	v_add_f64 v[0:1], v[70:71], v[74:75]
	;; [unrolled: 2-line block ×3, first 2 shown]
	v_add_f64 v[41:42], v[76:77], v[78:79]
	v_add_f64 v[45:46], v[60:61], v[80:81]
	v_fma_f64 v[43:44], v[50:51], s[0:1], v[48:49]
	v_fma_f64 v[47:48], v[50:51], s[4:5], v[48:49]
	v_add_f64 v[49:50], v[86:87], v[70:71]
	v_fma_f64 v[0:1], v[0:1], -0.5, v[86:87]
	v_add_f64 v[51:52], v[52:53], -v[72:73]
	v_add_f64 v[53:54], v[90:91], v[76:77]
	v_fma_f64 v[57:58], v[41:42], -0.5, v[90:91]
	v_add_f64 v[62:63], v[60:61], -v[80:81]
	;; [unrolled: 3-line block ×3, first 2 shown]
	v_add_f64 v[41:42], v[49:50], v[74:75]
	v_fma_f64 v[45:46], v[51:52], s[4:5], v[0:1]
	v_fma_f64 v[49:50], v[51:52], s[0:1], v[0:1]
	v_add_f64 v[51:52], v[53:54], v[78:79]
	v_fma_f64 v[55:56], v[62:63], s[0:1], v[57:58]
	v_fma_f64 v[59:60], v[62:63], s[4:5], v[57:58]
	;; [unrolled: 3-line block ×3, first 2 shown]
	ds_write_b128 v146, v[3:6]
	ds_write_b128 v146, v[7:10] offset:1040
	ds_write_b128 v146, v[11:14] offset:2080
	ds_write_b128 v2, v[15:18]
	ds_write_b128 v2, v[19:22] offset:1040
	ds_write_b128 v2, v[23:26] offset:2080
	;; [unrolled: 1-line block ×11, first 2 shown]
	s_waitcnt lgkmcnt(0)
	; wave barrier
	s_waitcnt lgkmcnt(0)
	s_and_saveexec_b64 s[0:1], vcc
	s_cbranch_execz .LBB0_17
; %bb.16:
	v_mad_u64_u32 v[0:1], s[0:1], s2, v140, 0
	v_mad_u64_u32 v[8:9], s[0:1], s2, v143, 0
	;; [unrolled: 1-line block ×3, first 2 shown]
	v_mov_b32_e32 v2, s13
	v_add_co_u32_e32 v15, vcc, s12, v88
	v_lshlrev_b64 v[0:1], 4, v[0:1]
	v_addc_co_u32_e32 v16, vcc, v2, v89, vcc
	v_add_co_u32_e32 v10, vcc, v15, v0
	v_mov_b32_e32 v4, v9
	v_addc_co_u32_e32 v11, vcc, v16, v1, vcc
	ds_read_b128 v[0:3], v145
	v_mad_u64_u32 v[12:13], s[0:1], s3, v143, v[4:5]
	ds_read_b128 v[4:7], v145 offset:208
	v_mad_u64_u32 v[13:14], s[0:1], s2, v144, 0
	s_waitcnt lgkmcnt(1)
	global_store_dwordx4 v[10:11], v[0:3], off
	v_mov_b32_e32 v9, v12
	v_mov_b32_e32 v2, v14
	v_mad_u64_u32 v[2:3], s[0:1], s3, v144, v[2:3]
	v_lshlrev_b64 v[0:1], 4, v[8:9]
	v_mad_u64_u32 v[8:9], s[0:1], s2, v142, 0
	v_add_co_u32_e32 v0, vcc, v15, v0
	v_addc_co_u32_e32 v1, vcc, v16, v1, vcc
	v_mov_b32_e32 v14, v2
	s_waitcnt lgkmcnt(0)
	global_store_dwordx4 v[0:1], v[4:7], off
	v_lshlrev_b64 v[0:1], 4, v[13:14]
	v_mov_b32_e32 v4, v9
	v_add_co_u32_e32 v10, vcc, v15, v0
	v_addc_co_u32_e32 v11, vcc, v16, v1, vcc
	ds_read_b128 v[0:3], v145 offset:416
	v_mad_u64_u32 v[12:13], s[0:1], s3, v142, v[4:5]
	ds_read_b128 v[4:7], v145 offset:624
	v_mad_u64_u32 v[13:14], s[0:1], s2, v141, 0
	s_waitcnt lgkmcnt(1)
	global_store_dwordx4 v[10:11], v[0:3], off
	v_mov_b32_e32 v9, v12
	v_mov_b32_e32 v2, v14
	v_mad_u64_u32 v[2:3], s[0:1], s3, v141, v[2:3]
	v_lshlrev_b64 v[0:1], 4, v[8:9]
	v_add_u32_e32 v17, 0x4e, v140
	v_mov_b32_e32 v14, v2
	v_add_u32_e32 v2, 0x41, v140
	v_add_co_u32_e32 v0, vcc, v15, v0
	v_mad_u64_u32 v[8:9], s[0:1], s2, v2, 0
	v_addc_co_u32_e32 v1, vcc, v16, v1, vcc
	s_waitcnt lgkmcnt(0)
	global_store_dwordx4 v[0:1], v[4:7], off
	v_lshlrev_b64 v[0:1], 4, v[13:14]
	v_add_co_u32_e32 v10, vcc, v15, v0
	v_mov_b32_e32 v0, v9
	v_mad_u64_u32 v[12:13], s[0:1], s3, v2, v[0:1]
	v_addc_co_u32_e32 v11, vcc, v16, v1, vcc
	ds_read_b128 v[0:3], v145 offset:832
	ds_read_b128 v[4:7], v145 offset:1040
	v_mad_u64_u32 v[13:14], s[0:1], s2, v17, 0
	v_mov_b32_e32 v9, v12
	s_waitcnt lgkmcnt(1)
	global_store_dwordx4 v[10:11], v[0:3], off
	s_nop 0
	v_mov_b32_e32 v2, v14
	v_mad_u64_u32 v[2:3], s[0:1], s3, v17, v[2:3]
	v_lshlrev_b64 v[0:1], 4, v[8:9]
	v_add_u32_e32 v17, 0x68, v140
	v_mov_b32_e32 v14, v2
	v_add_u32_e32 v2, 0x5b, v140
	v_add_co_u32_e32 v0, vcc, v15, v0
	v_mad_u64_u32 v[8:9], s[0:1], s2, v2, 0
	v_addc_co_u32_e32 v1, vcc, v16, v1, vcc
	s_waitcnt lgkmcnt(0)
	global_store_dwordx4 v[0:1], v[4:7], off
	v_lshlrev_b64 v[0:1], 4, v[13:14]
	v_add_co_u32_e32 v10, vcc, v15, v0
	v_mov_b32_e32 v0, v9
	v_mad_u64_u32 v[12:13], s[0:1], s3, v2, v[0:1]
	v_addc_co_u32_e32 v11, vcc, v16, v1, vcc
	ds_read_b128 v[0:3], v145 offset:1248
	ds_read_b128 v[4:7], v145 offset:1456
	v_mad_u64_u32 v[13:14], s[0:1], s2, v17, 0
	v_mov_b32_e32 v9, v12
	s_waitcnt lgkmcnt(1)
	global_store_dwordx4 v[10:11], v[0:3], off
	s_nop 0
	;; [unrolled: 23-line block ×5, first 2 shown]
	v_mov_b32_e32 v2, v14
	v_lshlrev_b64 v[0:1], 4, v[8:9]
	v_mad_u64_u32 v[2:3], s[0:1], s3, v17, v[2:3]
	v_add_co_u32_e32 v0, vcc, v15, v0
	v_addc_co_u32_e32 v1, vcc, v16, v1, vcc
	s_waitcnt lgkmcnt(0)
	global_store_dwordx4 v[0:1], v[4:7], off
	v_mov_b32_e32 v14, v2
	ds_read_b128 v[0:3], v145 offset:2912
	v_lshlrev_b64 v[4:5], 4, v[13:14]
	v_add_co_u32_e32 v4, vcc, v15, v4
	v_addc_co_u32_e32 v5, vcc, v16, v5, vcc
	s_waitcnt lgkmcnt(0)
	global_store_dwordx4 v[4:5], v[0:3], off
.LBB0_17:
	s_endpgm
	.section	.rodata,"a",@progbits
	.p2align	6, 0x0
	.amdhsa_kernel fft_rtc_fwd_len195_factors_13_5_3_wgs_52_tpt_13_dp_ip_CI_sbrr_dirReg
		.amdhsa_group_segment_fixed_size 0
		.amdhsa_private_segment_fixed_size 0
		.amdhsa_kernarg_size 88
		.amdhsa_user_sgpr_count 6
		.amdhsa_user_sgpr_private_segment_buffer 1
		.amdhsa_user_sgpr_dispatch_ptr 0
		.amdhsa_user_sgpr_queue_ptr 0
		.amdhsa_user_sgpr_kernarg_segment_ptr 1
		.amdhsa_user_sgpr_dispatch_id 0
		.amdhsa_user_sgpr_flat_scratch_init 0
		.amdhsa_user_sgpr_private_segment_size 0
		.amdhsa_uses_dynamic_stack 0
		.amdhsa_system_sgpr_private_segment_wavefront_offset 0
		.amdhsa_system_sgpr_workgroup_id_x 1
		.amdhsa_system_sgpr_workgroup_id_y 0
		.amdhsa_system_sgpr_workgroup_id_z 0
		.amdhsa_system_sgpr_workgroup_info 0
		.amdhsa_system_vgpr_workitem_id 0
		.amdhsa_next_free_vgpr 193
		.amdhsa_next_free_sgpr 48
		.amdhsa_reserve_vcc 1
		.amdhsa_reserve_flat_scratch 0
		.amdhsa_float_round_mode_32 0
		.amdhsa_float_round_mode_16_64 0
		.amdhsa_float_denorm_mode_32 3
		.amdhsa_float_denorm_mode_16_64 3
		.amdhsa_dx10_clamp 1
		.amdhsa_ieee_mode 1
		.amdhsa_fp16_overflow 0
		.amdhsa_exception_fp_ieee_invalid_op 0
		.amdhsa_exception_fp_denorm_src 0
		.amdhsa_exception_fp_ieee_div_zero 0
		.amdhsa_exception_fp_ieee_overflow 0
		.amdhsa_exception_fp_ieee_underflow 0
		.amdhsa_exception_fp_ieee_inexact 0
		.amdhsa_exception_int_div_zero 0
	.end_amdhsa_kernel
	.text
.Lfunc_end0:
	.size	fft_rtc_fwd_len195_factors_13_5_3_wgs_52_tpt_13_dp_ip_CI_sbrr_dirReg, .Lfunc_end0-fft_rtc_fwd_len195_factors_13_5_3_wgs_52_tpt_13_dp_ip_CI_sbrr_dirReg
                                        ; -- End function
	.section	.AMDGPU.csdata,"",@progbits
; Kernel info:
; codeLenInByte = 14336
; NumSgprs: 52
; NumVgprs: 193
; ScratchSize: 0
; MemoryBound: 0
; FloatMode: 240
; IeeeMode: 1
; LDSByteSize: 0 bytes/workgroup (compile time only)
; SGPRBlocks: 6
; VGPRBlocks: 48
; NumSGPRsForWavesPerEU: 52
; NumVGPRsForWavesPerEU: 193
; Occupancy: 1
; WaveLimiterHint : 1
; COMPUTE_PGM_RSRC2:SCRATCH_EN: 0
; COMPUTE_PGM_RSRC2:USER_SGPR: 6
; COMPUTE_PGM_RSRC2:TRAP_HANDLER: 0
; COMPUTE_PGM_RSRC2:TGID_X_EN: 1
; COMPUTE_PGM_RSRC2:TGID_Y_EN: 0
; COMPUTE_PGM_RSRC2:TGID_Z_EN: 0
; COMPUTE_PGM_RSRC2:TIDIG_COMP_CNT: 0
	.type	__hip_cuid_4255a0a77a3cd952,@object ; @__hip_cuid_4255a0a77a3cd952
	.section	.bss,"aw",@nobits
	.globl	__hip_cuid_4255a0a77a3cd952
__hip_cuid_4255a0a77a3cd952:
	.byte	0                               ; 0x0
	.size	__hip_cuid_4255a0a77a3cd952, 1

	.ident	"AMD clang version 19.0.0git (https://github.com/RadeonOpenCompute/llvm-project roc-6.4.0 25133 c7fe45cf4b819c5991fe208aaa96edf142730f1d)"
	.section	".note.GNU-stack","",@progbits
	.addrsig
	.addrsig_sym __hip_cuid_4255a0a77a3cd952
	.amdgpu_metadata
---
amdhsa.kernels:
  - .args:
      - .actual_access:  read_only
        .address_space:  global
        .offset:         0
        .size:           8
        .value_kind:     global_buffer
      - .offset:         8
        .size:           8
        .value_kind:     by_value
      - .actual_access:  read_only
        .address_space:  global
        .offset:         16
        .size:           8
        .value_kind:     global_buffer
      - .actual_access:  read_only
        .address_space:  global
        .offset:         24
        .size:           8
        .value_kind:     global_buffer
      - .offset:         32
        .size:           8
        .value_kind:     by_value
      - .actual_access:  read_only
        .address_space:  global
        .offset:         40
        .size:           8
        .value_kind:     global_buffer
      - .actual_access:  read_only
        .address_space:  global
        .offset:         48
        .size:           8
        .value_kind:     global_buffer
      - .offset:         56
        .size:           4
        .value_kind:     by_value
      - .actual_access:  read_only
        .address_space:  global
        .offset:         64
        .size:           8
        .value_kind:     global_buffer
      - .actual_access:  read_only
        .address_space:  global
        .offset:         72
        .size:           8
        .value_kind:     global_buffer
      - .address_space:  global
        .offset:         80
        .size:           8
        .value_kind:     global_buffer
    .group_segment_fixed_size: 0
    .kernarg_segment_align: 8
    .kernarg_segment_size: 88
    .language:       OpenCL C
    .language_version:
      - 2
      - 0
    .max_flat_workgroup_size: 52
    .name:           fft_rtc_fwd_len195_factors_13_5_3_wgs_52_tpt_13_dp_ip_CI_sbrr_dirReg
    .private_segment_fixed_size: 0
    .sgpr_count:     52
    .sgpr_spill_count: 0
    .symbol:         fft_rtc_fwd_len195_factors_13_5_3_wgs_52_tpt_13_dp_ip_CI_sbrr_dirReg.kd
    .uniform_work_group_size: 1
    .uses_dynamic_stack: false
    .vgpr_count:     193
    .vgpr_spill_count: 0
    .wavefront_size: 64
amdhsa.target:   amdgcn-amd-amdhsa--gfx906
amdhsa.version:
  - 1
  - 2
...

	.end_amdgpu_metadata
